;; amdgpu-corpus repo=ROCm/rocFFT kind=compiled arch=gfx1201 opt=O3
	.text
	.amdgcn_target "amdgcn-amd-amdhsa--gfx1201"
	.amdhsa_code_object_version 6
	.protected	bluestein_single_back_len1944_dim1_sp_op_CI_CI ; -- Begin function bluestein_single_back_len1944_dim1_sp_op_CI_CI
	.globl	bluestein_single_back_len1944_dim1_sp_op_CI_CI
	.p2align	8
	.type	bluestein_single_back_len1944_dim1_sp_op_CI_CI,@function
bluestein_single_back_len1944_dim1_sp_op_CI_CI: ; @bluestein_single_back_len1944_dim1_sp_op_CI_CI
; %bb.0:
	s_load_b128 s[8:11], s[0:1], 0x28
	v_mul_u32_u24_e32 v1, 0x10e, v0
	s_mov_b32 s2, exec_lo
	v_mov_b32_e32 v73, 0
	s_delay_alu instid0(VALU_DEP_2) | instskip(NEXT) | instid1(VALU_DEP_1)
	v_lshrrev_b32_e32 v1, 16, v1
	v_add_nc_u32_e32 v72, ttmp9, v1
	s_wait_kmcnt 0x0
	s_delay_alu instid0(VALU_DEP_1)
	v_cmpx_gt_u64_e64 s[8:9], v[72:73]
	s_cbranch_execz .LBB0_47
; %bb.1:
	s_clause 0x1
	s_load_b128 s[4:7], s[0:1], 0x18
	s_load_b64 s[16:17], s[0:1], 0x0
	v_mul_lo_u16 v1, 0xf3, v1
	s_movk_i32 s2, 0xfbe3
	s_mov_b32 s3, -1
	s_delay_alu instid0(VALU_DEP_1) | instskip(NEXT) | instid1(VALU_DEP_1)
	v_sub_nc_u16 v18, v0, v1
	v_and_b32_e32 v96, 0xffff, v18
	s_wait_kmcnt 0x0
	s_load_b128 s[12:15], s[4:5], 0x0
	s_wait_kmcnt 0x0
	v_mad_co_u64_u32 v[0:1], null, s14, v72, 0
	v_mad_co_u64_u32 v[2:3], null, s12, v96, 0
	s_mul_u64 s[4:5], s[12:13], 0x288
	s_mul_u64 s[2:3], s[12:13], s[2:3]
	s_delay_alu instid0(SALU_CYCLE_1) | instskip(NEXT) | instid1(VALU_DEP_1)
	s_lshl_b64 s[2:3], s[2:3], 3
	v_mad_co_u64_u32 v[4:5], null, s15, v72, v[1:2]
	s_delay_alu instid0(VALU_DEP_1) | instskip(NEXT) | instid1(VALU_DEP_3)
	v_mov_b32_e32 v1, v4
	v_mad_co_u64_u32 v[5:6], null, s13, v96, v[3:4]
	v_lshlrev_b32_e32 v95, 3, v96
	s_clause 0x2
	global_load_b64 v[81:82], v95, s[16:17]
	global_load_b64 v[75:76], v95, s[16:17] offset:10368
	global_load_b64 v[77:78], v95, s[16:17] offset:7128
	v_mov_b32_e32 v3, v5
	v_lshlrev_b64_e32 v[0:1], 3, v[0:1]
	s_clause 0x1
	global_load_b64 v[79:80], v95, s[16:17] offset:5184
	global_load_b64 v[85:86], v95, s[16:17] offset:1944
	v_lshlrev_b64_e32 v[2:3], 3, v[2:3]
	v_add_co_u32 v0, vcc_lo, s10, v0
	v_add_co_ci_u32_e32 v1, vcc_lo, s11, v1, vcc_lo
	s_lshl_b64 s[10:11], s[4:5], 3
	s_delay_alu instid0(VALU_DEP_2) | instskip(SKIP_1) | instid1(VALU_DEP_2)
	v_add_co_u32 v0, vcc_lo, v0, v2
	s_wait_alu 0xfffd
	v_add_co_ci_u32_e32 v1, vcc_lo, v1, v3, vcc_lo
	s_wait_alu 0xfffe
	s_delay_alu instid0(VALU_DEP_2)
	v_add_co_u32 v2, vcc_lo, v0, s10
	global_load_b64 v[4:5], v[0:1], off
	s_wait_alu 0xfffd
	v_add_co_ci_u32_e32 v3, vcc_lo, s11, v1, vcc_lo
	v_add_co_u32 v0, vcc_lo, v2, s10
	s_wait_alu 0xfffd
	s_delay_alu instid0(VALU_DEP_2) | instskip(NEXT) | instid1(VALU_DEP_2)
	v_add_co_ci_u32_e32 v1, vcc_lo, s11, v3, vcc_lo
	v_add_co_u32 v6, vcc_lo, v0, s2
	s_clause 0x1
	global_load_b64 v[2:3], v[2:3], off
	global_load_b64 v[8:9], v[0:1], off
	s_wait_alu 0xfffd
	v_add_co_ci_u32_e32 v7, vcc_lo, s3, v1, vcc_lo
	v_add_co_u32 v10, vcc_lo, v6, s10
	s_wait_alu 0xfffd
	s_delay_alu instid0(VALU_DEP_2)
	v_add_co_ci_u32_e32 v11, vcc_lo, s11, v7, vcc_lo
	global_load_b64 v[6:7], v[6:7], off
	v_add_co_u32 v0, vcc_lo, v10, s10
	s_wait_alu 0xfffd
	v_add_co_ci_u32_e32 v1, vcc_lo, s11, v11, vcc_lo
	v_cmp_gt_u16_e32 vcc_lo, 0xa2, v18
	s_wait_loadcnt 0x3
	v_mul_f32_e32 v14, v5, v82
	global_load_b64 v[10:11], v[10:11], off
	global_load_b64 v[83:84], v95, s[16:17] offset:12312
	global_load_b64 v[12:13], v[0:1], off
	s_load_b64 s[8:9], s[0:1], 0x38
	s_load_b128 s[4:7], s[6:7], 0x0
	v_mul_f32_e32 v15, v4, v82
	v_add_co_u32 v73, s12, s16, v95
	v_fmac_f32_e32 v14, v4, v81
	s_wait_alu 0xf1ff
	v_add_co_ci_u32_e64 v74, null, s17, 0, s12
	s_wait_loadcnt 0x5
	v_mul_f32_e32 v4, v3, v80
	v_fma_f32 v15, v5, v81, -v15
	v_mul_f32_e32 v5, v2, v80
	s_wait_loadcnt 0x4
	v_mul_f32_e32 v16, v9, v76
	v_dual_mul_f32 v17, v8, v76 :: v_dual_fmac_f32 v4, v2, v79
	s_wait_loadcnt 0x3
	v_mul_f32_e32 v2, v7, v86
	v_fma_f32 v5, v3, v79, -v5
	v_dual_mul_f32 v3, v6, v86 :: v_dual_fmac_f32 v16, v8, v75
	v_fma_f32 v17, v9, v75, -v17
	s_delay_alu instid0(VALU_DEP_4) | instskip(NEXT) | instid1(VALU_DEP_3)
	v_fmac_f32_e32 v2, v6, v85
	v_fma_f32 v3, v7, v85, -v3
	s_wait_loadcnt 0x2
	v_mul_f32_e32 v6, v11, v78
	v_mul_f32_e32 v9, v10, v78
	s_wait_loadcnt 0x0
	v_mul_f32_e32 v19, v12, v84
	v_mul_f32_e32 v8, v13, v84
	v_fmac_f32_e32 v6, v10, v77
	v_fma_f32 v7, v11, v77, -v9
	s_delay_alu instid0(VALU_DEP_4) | instskip(NEXT) | instid1(VALU_DEP_4)
	v_fma_f32 v9, v13, v83, -v19
	v_fmac_f32_e32 v8, v12, v83
	ds_store_b64 v95, v[4:5] offset:5184
	ds_store_b64 v95, v[16:17] offset:10368
	ds_store_2addr_b64 v95, v[14:15], v[2:3] offset1:243
	ds_store_b64 v95, v[6:7] offset:7128
	ds_store_b64 v95, v[8:9] offset:12312
	s_and_saveexec_b32 s12, vcc_lo
	s_cbranch_execz .LBB0_3
; %bb.2:
	v_add_co_u32 v0, s2, v0, s2
	s_wait_alu 0xf1ff
	v_add_co_ci_u32_e64 v1, s2, s3, v1, s2
	global_load_b64 v[4:5], v[73:74], off offset:3888
	global_load_b64 v[2:3], v[0:1], off
	v_add_co_u32 v0, s2, v0, s10
	s_wait_alu 0xf1ff
	v_add_co_ci_u32_e64 v1, s2, s11, v1, s2
	s_delay_alu instid0(VALU_DEP_2) | instskip(SKIP_1) | instid1(VALU_DEP_2)
	v_add_co_u32 v6, s2, v0, s10
	s_wait_alu 0xf1ff
	v_add_co_ci_u32_e64 v7, s2, s11, v1, s2
	global_load_b64 v[0:1], v[0:1], off
	s_clause 0x1
	global_load_b64 v[8:9], v[73:74], off offset:9072
	global_load_b64 v[10:11], v[73:74], off offset:14256
	global_load_b64 v[6:7], v[6:7], off
	s_wait_loadcnt 0x4
	v_mul_f32_e32 v12, v3, v5
	v_mul_f32_e32 v13, v2, v5
	s_wait_loadcnt 0x0
	v_mul_f32_e32 v5, v7, v11
	v_mul_f32_e32 v11, v6, v11
	v_fmac_f32_e32 v12, v2, v4
	v_mul_f32_e32 v2, v1, v9
	v_mul_f32_e32 v9, v0, v9
	v_fmac_f32_e32 v5, v6, v10
	v_fma_f32 v6, v7, v10, -v11
	s_delay_alu instid0(VALU_DEP_4)
	v_fmac_f32_e32 v2, v0, v8
	v_fma_f32 v13, v3, v4, -v13
	v_fma_f32 v3, v1, v8, -v9
	ds_store_b64 v95, v[12:13] offset:3888
	ds_store_b64 v95, v[2:3] offset:9072
	ds_store_b64 v95, v[5:6] offset:14256
.LBB0_3:
	s_wait_alu 0xfffe
	s_or_b32 exec_lo, exec_lo, s12
	v_add_nc_u32_e32 v4, 0x1400, v95
	v_add_nc_u32_e32 v5, 0x2880, v95
	global_wb scope:SCOPE_SE
	s_wait_dscnt 0x0
	s_wait_kmcnt 0x0
	s_barrier_signal -1
	s_barrier_wait -1
	global_inv scope:SCOPE_SE
	ds_load_2addr_b64 v[0:3], v95 offset1:243
	ds_load_2addr_b64 v[8:11], v4 offset0:8 offset1:251
	ds_load_2addr_b64 v[4:7], v5 offset1:243
                                        ; implicit-def: $vgpr14
                                        ; implicit-def: $vgpr12
                                        ; implicit-def: $vgpr24
	s_and_saveexec_b32 s2, vcc_lo
	s_cbranch_execz .LBB0_5
; %bb.4:
	ds_load_b64 v[24:25], v95 offset:3888
	ds_load_b64 v[14:15], v95 offset:9072
	;; [unrolled: 1-line block ×3, first 2 shown]
.LBB0_5:
	s_wait_alu 0xfffe
	s_or_b32 exec_lo, exec_lo, s2
	v_add_co_u32 v54, s2, 0xf3, v96
	s_wait_alu 0xf1ff
	v_add_co_ci_u32_e64 v16, null, 0, 0, s2
	s_wait_dscnt 0x1
	v_add_f32_e32 v16, v0, v8
	s_wait_dscnt 0x0
	v_dual_add_f32 v17, v8, v4 :: v_dual_add_f32 v18, v9, v5
	s_load_b64 s[0:1], s[0:1], 0x8
	v_add_co_u32 v110, s2, 0x1e6, v96
	s_delay_alu instid0(VALU_DEP_2)
	v_fma_f32 v0, -0.5, v17, v0
	v_dual_sub_f32 v17, v9, v5 :: v_dual_add_f32 v16, v16, v4
	v_add_f32_e32 v9, v1, v9
	v_fma_f32 v1, -0.5, v18, v1
	v_sub_f32_e32 v8, v8, v4
	v_add_f32_e32 v18, v10, v6
	v_fmamk_f32 v4, v17, 0x3f5db3d7, v0
	v_dual_fmac_f32 v0, 0xbf5db3d7, v17 :: v_dual_sub_f32 v19, v11, v7
	v_add_f32_e32 v17, v9, v5
	v_fmamk_f32 v5, v8, 0xbf5db3d7, v1
	v_add_f32_e32 v9, v2, v10
	v_fma_f32 v2, -0.5, v18, v2
	v_dual_add_f32 v20, v11, v7 :: v_dual_fmac_f32 v1, 0x3f5db3d7, v8
	s_wait_alu 0xf1ff
	v_add_co_ci_u32_e64 v111, null, 0, 0, s2
	v_dual_add_f32 v8, v9, v6 :: v_dual_add_f32 v9, v3, v11
	s_delay_alu instid0(VALU_DEP_3) | instskip(SKIP_2) | instid1(VALU_DEP_4)
	v_dual_fmamk_f32 v18, v19, 0x3f5db3d7, v2 :: v_dual_fmac_f32 v3, -0.5, v20
	v_sub_f32_e32 v6, v10, v6
	v_fmac_f32_e32 v2, 0xbf5db3d7, v19
	v_add_f32_e32 v9, v9, v7
	v_add_f32_e32 v7, v14, v24
	;; [unrolled: 1-line block ×3, first 2 shown]
	v_fmamk_f32 v19, v6, 0xbf5db3d7, v3
	v_dual_fmac_f32 v3, 0x3f5db3d7, v6 :: v_dual_add_f32 v6, v15, v13
	s_delay_alu instid0(VALU_DEP_4) | instskip(NEXT) | instid1(VALU_DEP_4)
	v_dual_add_f32 v36, v12, v7 :: v_dual_sub_f32 v7, v15, v13
	v_fmac_f32_e32 v24, -0.5, v10
	s_delay_alu instid0(VALU_DEP_3) | instskip(SKIP_3) | instid1(VALU_DEP_4)
	v_dual_add_f32 v10, v15, v25 :: v_dual_fmac_f32 v25, -0.5, v6
	v_sub_f32_e32 v6, v14, v12
	v_mul_lo_u16 v11, v96, 3
	v_mul_u32_u24_e32 v98, 3, v110
	v_add_f32_e32 v37, v13, v10
	global_wb scope:SCOPE_SE
	v_fmamk_f32 v27, v6, 0xbf5db3d7, v25
	v_dual_fmamk_f32 v26, v7, 0x3f5db3d7, v24 :: v_dual_fmac_f32 v25, 0x3f5db3d7, v6
	v_mul_u32_u24_e32 v6, 3, v54
	v_fmac_f32_e32 v24, 0xbf5db3d7, v7
	v_and_b32_e32 v7, 0xffff, v11
	s_wait_kmcnt 0x0
	s_barrier_signal -1
	s_barrier_wait -1
	v_lshlrev_b32_e32 v97, 3, v6
	global_inv scope:SCOPE_SE
	v_lshlrev_b32_e32 v99, 3, v7
	ds_store_2addr_b64 v99, v[16:17], v[4:5] offset1:1
	ds_store_b64 v99, v[0:1] offset:16
	ds_store_2addr_b64 v97, v[8:9], v[18:19] offset1:1
	ds_store_b64 v97, v[2:3] offset:16
	s_and_saveexec_b32 s2, vcc_lo
	s_cbranch_execz .LBB0_7
; %bb.6:
	v_lshlrev_b32_e32 v0, 3, v98
	ds_store_2addr_b64 v0, v[36:37], v[26:27] offset1:1
	ds_store_b64 v0, v[24:25] offset:16
.LBB0_7:
	s_wait_alu 0xfffe
	s_or_b32 exec_lo, exec_lo, s2
	v_add_nc_u32_e32 v0, 0x1400, v95
	v_add_nc_u32_e32 v1, 0x2880, v95
	global_wb scope:SCOPE_SE
	s_wait_dscnt 0x0
	s_barrier_signal -1
	s_barrier_wait -1
	global_inv scope:SCOPE_SE
	ds_load_2addr_b64 v[12:15], v95 offset1:243
	ds_load_2addr_b64 v[20:23], v0 offset0:8 offset1:251
	ds_load_2addr_b64 v[16:19], v1 offset1:243
	s_and_saveexec_b32 s2, vcc_lo
	s_cbranch_execz .LBB0_9
; %bb.8:
	ds_load_b64 v[36:37], v95 offset:3888
	ds_load_b64 v[26:27], v95 offset:9072
	;; [unrolled: 1-line block ×3, first 2 shown]
.LBB0_9:
	s_wait_alu 0xfffe
	s_or_b32 exec_lo, exec_lo, s2
	v_and_b32_e32 v55, 0xff, v96
	v_and_b32_e32 v57, 0xffff, v54
	s_delay_alu instid0(VALU_DEP_2) | instskip(NEXT) | instid1(VALU_DEP_2)
	v_mul_lo_u16 v0, 0xab, v55
	v_mul_u32_u24_e32 v1, 0xaaab, v57
	s_delay_alu instid0(VALU_DEP_2) | instskip(NEXT) | instid1(VALU_DEP_2)
	v_lshrrev_b16 v28, 9, v0
	v_lshrrev_b32_e32 v29, 17, v1
	s_delay_alu instid0(VALU_DEP_2) | instskip(NEXT) | instid1(VALU_DEP_1)
	v_mul_lo_u16 v1, v28, 3
	v_sub_nc_u16 v1, v96, v1
	s_delay_alu instid0(VALU_DEP_1) | instskip(NEXT) | instid1(VALU_DEP_1)
	v_and_b32_e32 v32, 0xff, v1
	v_lshlrev_b32_e32 v1, 4, v32
	global_load_b128 v[8:11], v1, s[0:1]
	v_and_b32_e32 v56, 0xffff, v110
	s_delay_alu instid0(VALU_DEP_1) | instskip(NEXT) | instid1(VALU_DEP_1)
	v_mul_u32_u24_e32 v0, 0xaaab, v56
	v_lshrrev_b32_e32 v30, 17, v0
	v_mul_lo_u16 v0, v29, 3
	s_delay_alu instid0(VALU_DEP_2) | instskip(NEXT) | instid1(VALU_DEP_2)
	v_mul_lo_u16 v2, v30, 3
	v_sub_nc_u16 v31, v54, v0
	s_delay_alu instid0(VALU_DEP_2) | instskip(NEXT) | instid1(VALU_DEP_2)
	v_sub_nc_u16 v33, v110, v2
	v_lshlrev_b16 v0, 1, v31
	v_mad_u16 v29, v29, 9, v31
	s_delay_alu instid0(VALU_DEP_3) | instskip(SKIP_1) | instid1(VALU_DEP_2)
	v_lshlrev_b16 v2, 1, v33
	v_mad_u16 v100, v30, 9, v33
	v_and_b32_e32 v1, 0xffff, v2
	s_delay_alu instid0(VALU_DEP_1) | instskip(SKIP_3) | instid1(VALU_DEP_2)
	v_lshlrev_b32_e32 v1, 3, v1
	s_wait_loadcnt_dscnt 0x0
	v_dual_mul_f32 v31, v16, v11 :: v_dual_and_b32 v0, 0xffff, v0
	v_mul_f32_e32 v30, v17, v11
	v_dual_fmac_f32 v31, v17, v10 :: v_dual_lshlrev_b32 v0, 3, v0
	s_delay_alu instid0(VALU_DEP_2)
	v_fma_f32 v16, v16, v10, -v30
	s_clause 0x1
	global_load_b128 v[4:7], v0, s[0:1]
	global_load_b128 v[0:3], v1, s[0:1]
	v_and_b32_e32 v28, 0xffff, v28
	global_wb scope:SCOPE_SE
	s_wait_loadcnt 0x0
	s_barrier_signal -1
	s_barrier_wait -1
	global_inv scope:SCOPE_SE
	v_mul_u32_u24_e32 v28, 9, v28
	s_delay_alu instid0(VALU_DEP_1) | instskip(SKIP_4) | instid1(VALU_DEP_3)
	v_add_lshl_u32 v102, v28, v32, 3
	v_mul_f32_e32 v28, v21, v9
	v_dual_mul_f32 v30, v18, v7 :: v_dual_and_b32 v29, 0xffff, v29
	v_dual_mul_f32 v17, v23, v5 :: v_dual_mul_f32 v34, v25, v3
	v_mul_f32_e32 v32, v27, v1
	v_dual_fmac_f32 v30, v19, v6 :: v_dual_lshlrev_b32 v101, 3, v29
	v_mul_f32_e32 v29, v20, v9
	v_fma_f32 v20, v20, v8, -v28
	s_delay_alu instid0(VALU_DEP_2)
	v_dual_mul_f32 v28, v19, v7 :: v_dual_fmac_f32 v29, v21, v8
	v_mul_f32_e32 v21, v22, v5
	v_mul_f32_e32 v35, v24, v3
	v_fma_f32 v22, v22, v4, -v17
	v_add_f32_e32 v17, v12, v20
	v_mul_f32_e32 v33, v26, v1
	v_fmac_f32_e32 v21, v23, v4
	v_fma_f32 v23, v18, v6, -v28
	v_fma_f32 v18, v26, v0, -v32
	v_add_f32_e32 v26, v13, v29
	v_fmac_f32_e32 v35, v25, v2
	v_sub_f32_e32 v25, v29, v31
	v_add_f32_e32 v19, v20, v16
	v_fma_f32 v24, v24, v2, -v34
	v_sub_f32_e32 v20, v20, v16
	v_add_f32_e32 v16, v17, v16
	v_sub_f32_e32 v32, v22, v23
	v_fma_f32 v12, -0.5, v19, v12
	v_add_f32_e32 v17, v26, v31
	v_dual_add_f32 v26, v14, v22 :: v_dual_fmac_f32 v33, v27, v0
	v_sub_f32_e32 v28, v21, v30
	v_dual_add_f32 v27, v29, v31 :: v_dual_add_f32 v34, v18, v24
	v_add_f32_e32 v31, v21, v30
	s_delay_alu instid0(VALU_DEP_4) | instskip(SKIP_1) | instid1(VALU_DEP_4)
	v_add_f32_e32 v38, v37, v33
	v_dual_add_f32 v29, v15, v21 :: v_dual_sub_f32 v40, v18, v24
	v_fma_f32 v13, -0.5, v27, v13
	v_dual_add_f32 v27, v22, v23 :: v_dual_add_f32 v22, v36, v18
	v_dual_fmac_f32 v36, -0.5, v34 :: v_dual_sub_f32 v39, v33, v35
	v_fmamk_f32 v18, v25, 0x3f5db3d7, v12
	s_delay_alu instid0(VALU_DEP_3) | instskip(NEXT) | instid1(VALU_DEP_4)
	v_fma_f32 v14, -0.5, v27, v14
	v_dual_add_f32 v48, v22, v24 :: v_dual_add_f32 v33, v33, v35
	v_fmamk_f32 v19, v20, 0xbf5db3d7, v13
	s_delay_alu instid0(VALU_DEP_3) | instskip(NEXT) | instid1(VALU_DEP_3)
	v_dual_fmac_f32 v13, 0x3f5db3d7, v20 :: v_dual_fmamk_f32 v22, v28, 0x3f5db3d7, v14
	v_dual_add_f32 v20, v26, v23 :: v_dual_fmac_f32 v37, -0.5, v33
	v_fmac_f32_e32 v15, -0.5, v31
	v_add_f32_e32 v21, v29, v30
	v_dual_add_f32 v49, v38, v35 :: v_dual_fmamk_f32 v38, v39, 0x3f5db3d7, v36
	s_delay_alu instid0(VALU_DEP_4)
	v_dual_fmac_f32 v36, 0xbf5db3d7, v39 :: v_dual_fmamk_f32 v39, v40, 0xbf5db3d7, v37
	v_fmac_f32_e32 v37, 0x3f5db3d7, v40
	v_dual_fmac_f32 v12, 0xbf5db3d7, v25 :: v_dual_fmamk_f32 v23, v32, 0xbf5db3d7, v15
	v_fmac_f32_e32 v14, 0xbf5db3d7, v28
	v_fmac_f32_e32 v15, 0x3f5db3d7, v32
	ds_store_2addr_b64 v102, v[16:17], v[18:19] offset1:3
	ds_store_b64 v102, v[12:13] offset:48
	ds_store_2addr_b64 v101, v[20:21], v[22:23] offset1:3
	ds_store_b64 v101, v[14:15] offset:48
	s_and_saveexec_b32 s2, vcc_lo
	s_cbranch_execz .LBB0_11
; %bb.10:
	v_and_b32_e32 v12, 0xffff, v100
	s_delay_alu instid0(VALU_DEP_1)
	v_lshlrev_b32_e32 v12, 3, v12
	ds_store_2addr_b64 v12, v[48:49], v[38:39] offset1:3
	ds_store_b64 v12, v[36:37] offset:48
.LBB0_11:
	s_wait_alu 0xfffe
	s_or_b32 exec_lo, exec_lo, s2
	v_add_nc_u32_e32 v12, 0x1400, v95
	v_add_nc_u32_e32 v13, 0x2880, v95
	global_wb scope:SCOPE_SE
	s_wait_dscnt 0x0
	s_barrier_signal -1
	s_barrier_wait -1
	global_inv scope:SCOPE_SE
	ds_load_2addr_b64 v[24:27], v95 offset1:243
	ds_load_2addr_b64 v[32:35], v12 offset0:8 offset1:251
	ds_load_2addr_b64 v[28:31], v13 offset1:243
	s_and_saveexec_b32 s2, vcc_lo
	s_cbranch_execz .LBB0_13
; %bb.12:
	ds_load_b64 v[48:49], v95 offset:3888
	ds_load_b64 v[38:39], v95 offset:9072
	;; [unrolled: 1-line block ×3, first 2 shown]
.LBB0_13:
	s_wait_alu 0xfffe
	s_or_b32 exec_lo, exec_lo, s2
	v_mul_lo_u16 v12, v55, 57
	v_mul_u32_u24_e32 v14, 0xe38f, v56
	v_mul_u32_u24_e32 v13, 0xe38f, v57
	s_delay_alu instid0(VALU_DEP_3) | instskip(NEXT) | instid1(VALU_DEP_3)
	v_lshrrev_b16 v40, 9, v12
	v_lshrrev_b32_e32 v42, 19, v14
	s_delay_alu instid0(VALU_DEP_3) | instskip(NEXT) | instid1(VALU_DEP_3)
	v_lshrrev_b32_e32 v41, 19, v13
	v_mul_lo_u16 v12, v40, 9
	s_delay_alu instid0(VALU_DEP_3) | instskip(NEXT) | instid1(VALU_DEP_3)
	v_mul_lo_u16 v14, v42, 9
	v_mul_lo_u16 v13, v41, 9
	s_delay_alu instid0(VALU_DEP_3) | instskip(NEXT) | instid1(VALU_DEP_3)
	v_sub_nc_u16 v12, v96, v12
	v_sub_nc_u16 v44, v110, v14
	s_delay_alu instid0(VALU_DEP_3) | instskip(NEXT) | instid1(VALU_DEP_3)
	v_sub_nc_u16 v43, v54, v13
	v_and_b32_e32 v45, 0xff, v12
	s_delay_alu instid0(VALU_DEP_3) | instskip(NEXT) | instid1(VALU_DEP_3)
	v_lshlrev_b16 v13, 4, v44
	v_lshlrev_b16 v12, 4, v43
	v_mad_u16 v41, v41, 27, v43
	v_mad_u16 v103, v42, 27, v44
	v_lshlrev_b32_e32 v14, 4, v45
	s_delay_alu instid0(VALU_DEP_3)
	v_and_b32_e32 v41, 0xffff, v41
	global_load_b128 v[20:23], v14, s[0:1] offset:48
	v_and_b32_e32 v12, 0xffff, v12
	v_and_b32_e32 v15, 0xffff, v13
	v_lshlrev_b32_e32 v104, 3, v41
	s_wait_loadcnt_dscnt 0x1
	v_mul_f32_e32 v41, v32, v21
	v_add_co_u32 v12, s2, s0, v12
	s_wait_alu 0xf1ff
	v_add_co_ci_u32_e64 v13, null, s1, 0, s2
	s_delay_alu instid0(VALU_DEP_3)
	v_fmac_f32_e32 v41, v33, v20
	s_wait_dscnt 0x0
	v_mul_f32_e32 v42, v29, v23
	v_add_co_u32 v14, s2, s0, v15
	s_wait_alu 0xf1ff
	v_add_co_ci_u32_e64 v15, null, s1, 0, s2
	s_clause 0x1
	global_load_b128 v[16:19], v[12:13], off offset:48
	global_load_b128 v[12:15], v[14:15], off offset:48
	v_dual_mul_f32 v43, v28, v23 :: v_dual_and_b32 v40, 0xffff, v40
	v_fma_f32 v28, v28, v22, -v42
	global_wb scope:SCOPE_SE
	s_wait_loadcnt 0x0
	s_barrier_signal -1
	v_fmac_f32_e32 v43, v29, v22
	v_mul_u32_u24_e32 v40, 27, v40
	s_barrier_wait -1
	global_inv scope:SCOPE_SE
	v_add_lshl_u32 v105, v40, v45, 3
	v_mul_f32_e32 v40, v33, v21
	s_delay_alu instid0(VALU_DEP_1) | instskip(SKIP_4) | instid1(VALU_DEP_4)
	v_fma_f32 v32, v32, v20, -v40
	v_dual_mul_f32 v29, v35, v17 :: v_dual_mul_f32 v42, v30, v19
	v_dual_mul_f32 v33, v34, v17 :: v_dual_mul_f32 v46, v37, v15
	v_mul_f32_e32 v40, v31, v19
	v_dual_mul_f32 v44, v39, v13 :: v_dual_mul_f32 v47, v36, v15
	v_dual_mul_f32 v45, v38, v13 :: v_dual_fmac_f32 v42, v31, v18
	v_fma_f32 v34, v34, v16, -v29
	v_fmac_f32_e32 v33, v35, v16
	v_fma_f32 v35, v30, v18, -v40
	v_fma_f32 v30, v38, v12, -v44
	v_dual_add_f32 v38, v25, v41 :: v_dual_fmac_f32 v45, v39, v12
	v_fma_f32 v36, v36, v14, -v46
	v_fmac_f32_e32 v47, v37, v14
	v_dual_add_f32 v29, v24, v32 :: v_dual_sub_f32 v40, v33, v42
	v_dual_add_f32 v31, v32, v28 :: v_dual_sub_f32 v44, v34, v35
	s_delay_alu instid0(VALU_DEP_4) | instskip(SKIP_1) | instid1(VALU_DEP_4)
	v_dual_add_f32 v39, v41, v43 :: v_dual_add_f32 v46, v30, v36
	v_dual_sub_f32 v37, v41, v43 :: v_dual_sub_f32 v32, v32, v28
	v_dual_add_f32 v28, v29, v28 :: v_dual_add_f32 v29, v38, v43
	s_delay_alu instid0(VALU_DEP_4) | instskip(NEXT) | instid1(VALU_DEP_4)
	v_fma_f32 v24, -0.5, v31, v24
	v_fma_f32 v25, -0.5, v39, v25
	v_add_f32_e32 v38, v26, v34
	v_dual_add_f32 v39, v34, v35 :: v_dual_add_f32 v34, v48, v30
	v_sub_f32_e32 v53, v45, v47
	v_add_f32_e32 v51, v49, v45
	v_dual_add_f32 v45, v45, v47 :: v_dual_fmac_f32 v48, -0.5, v46
	v_add_f32_e32 v43, v33, v42
	v_dual_add_f32 v41, v27, v33 :: v_dual_sub_f32 v58, v30, v36
	s_delay_alu instid0(VALU_DEP_3)
	v_dual_fmac_f32 v49, -0.5, v45 :: v_dual_fmamk_f32 v30, v37, 0x3f5db3d7, v24
	v_fmac_f32_e32 v24, 0xbf5db3d7, v37
	v_fma_f32 v26, -0.5, v39, v26
	v_dual_add_f32 v50, v34, v36 :: v_dual_fmac_f32 v27, -0.5, v43
	v_fmamk_f32 v52, v53, 0x3f5db3d7, v48
	v_fmamk_f32 v31, v32, 0xbf5db3d7, v25
	s_delay_alu instid0(VALU_DEP_4)
	v_dual_fmac_f32 v25, 0x3f5db3d7, v32 :: v_dual_fmamk_f32 v34, v40, 0x3f5db3d7, v26
	v_dual_add_f32 v32, v38, v35 :: v_dual_add_f32 v33, v41, v42
	v_dual_fmac_f32 v48, 0xbf5db3d7, v53 :: v_dual_add_f32 v51, v51, v47
	v_fmamk_f32 v53, v58, 0xbf5db3d7, v49
	v_fmac_f32_e32 v49, 0x3f5db3d7, v58
	v_dual_fmamk_f32 v35, v44, 0xbf5db3d7, v27 :: v_dual_fmac_f32 v26, 0xbf5db3d7, v40
	v_fmac_f32_e32 v27, 0x3f5db3d7, v44
	ds_store_2addr_b64 v105, v[28:29], v[30:31] offset1:9
	ds_store_b64 v105, v[24:25] offset:144
	ds_store_2addr_b64 v104, v[32:33], v[34:35] offset1:9
	ds_store_b64 v104, v[26:27] offset:144
	s_and_saveexec_b32 s2, vcc_lo
	s_cbranch_execz .LBB0_15
; %bb.14:
	v_and_b32_e32 v24, 0xffff, v103
	s_delay_alu instid0(VALU_DEP_1)
	v_lshlrev_b32_e32 v24, 3, v24
	ds_store_2addr_b64 v24, v[50:51], v[52:53] offset1:9
	ds_store_b64 v24, v[48:49] offset:144
.LBB0_15:
	s_wait_alu 0xfffe
	s_or_b32 exec_lo, exec_lo, s2
	v_add_nc_u32_e32 v24, 0x1400, v95
	v_add_nc_u32_e32 v25, 0x2880, v95
	global_wb scope:SCOPE_SE
	s_wait_dscnt 0x0
	s_barrier_signal -1
	s_barrier_wait -1
	global_inv scope:SCOPE_SE
	ds_load_2addr_b64 v[36:39], v95 offset1:243
	ds_load_2addr_b64 v[44:47], v24 offset0:8 offset1:251
	ds_load_2addr_b64 v[40:43], v25 offset1:243
	s_and_saveexec_b32 s2, vcc_lo
	s_cbranch_execz .LBB0_17
; %bb.16:
	ds_load_b64 v[50:51], v95 offset:3888
	ds_load_b64 v[52:53], v95 offset:9072
	ds_load_b64 v[48:49], v95 offset:14256
.LBB0_17:
	s_wait_alu 0xfffe
	s_or_b32 exec_lo, exec_lo, s2
	v_mul_u32_u24_e32 v24, 0x2f69, v57
	v_mul_lo_u16 v25, v55, 19
	v_mul_u32_u24_e32 v26, 0x2f69, v56
	s_delay_alu instid0(VALU_DEP_3) | instskip(NEXT) | instid1(VALU_DEP_3)
	v_lshrrev_b32_e32 v24, 16, v24
	v_lshrrev_b16 v56, 9, v25
	s_delay_alu instid0(VALU_DEP_3) | instskip(NEXT) | instid1(VALU_DEP_3)
	v_lshrrev_b32_e32 v25, 16, v26
	v_sub_nc_u16 v26, v54, v24
	s_delay_alu instid0(VALU_DEP_3) | instskip(NEXT) | instid1(VALU_DEP_3)
	v_mul_lo_u16 v27, v56, 27
	v_sub_nc_u16 v28, v110, v25
	s_delay_alu instid0(VALU_DEP_3) | instskip(NEXT) | instid1(VALU_DEP_3)
	v_lshrrev_b16 v26, 1, v26
	v_sub_nc_u16 v27, v96, v27
	s_delay_alu instid0(VALU_DEP_3) | instskip(NEXT) | instid1(VALU_DEP_3)
	v_lshrrev_b16 v28, 1, v28
	v_add_nc_u16 v24, v26, v24
	s_delay_alu instid0(VALU_DEP_3) | instskip(NEXT) | instid1(VALU_DEP_3)
	v_and_b32_e32 v57, 0xff, v27
	v_add_nc_u16 v25, v28, v25
	s_delay_alu instid0(VALU_DEP_3) | instskip(NEXT) | instid1(VALU_DEP_3)
	v_lshrrev_b16 v58, 4, v24
	v_lshlrev_b32_e32 v24, 4, v57
	s_delay_alu instid0(VALU_DEP_3) | instskip(NEXT) | instid1(VALU_DEP_3)
	v_lshrrev_b16 v59, 4, v25
	v_mul_lo_u16 v25, v58, 27
	global_load_b128 v[32:35], v24, s[0:1] offset:192
	v_mul_lo_u16 v24, v59, 27
	v_sub_nc_u16 v60, v54, v25
	s_delay_alu instid0(VALU_DEP_2) | instskip(NEXT) | instid1(VALU_DEP_2)
	v_sub_nc_u16 v61, v110, v24
	v_lshlrev_b16 v24, 4, v60
	v_mad_u16 v58, 0x51, v58, v60
	s_delay_alu instid0(VALU_DEP_3) | instskip(SKIP_1) | instid1(VALU_DEP_4)
	v_lshlrev_b16 v25, 4, v61
	v_mad_u16 v106, 0x51, v59, v61
	v_and_b32_e32 v24, 0xffff, v24
	s_delay_alu instid0(VALU_DEP_4) | instskip(SKIP_1) | instid1(VALU_DEP_1)
	v_and_b32_e32 v58, 0xffff, v58
	s_wait_loadcnt_dscnt 0x0
	v_dual_mul_f32 v59, v40, v35 :: v_dual_lshlrev_b32 v108, 3, v58
	v_and_b32_e32 v26, 0xffff, v25
	v_add_co_u32 v24, s2, s0, v24
	s_wait_alu 0xf1ff
	v_add_co_ci_u32_e64 v25, null, s1, 0, s2
	v_fmac_f32_e32 v59, v41, v34
	v_add_co_u32 v26, s2, s0, v26
	s_wait_alu 0xf1ff
	v_add_co_ci_u32_e64 v27, null, s1, 0, s2
	s_clause 0x1
	global_load_b128 v[28:31], v[24:25], off offset:192
	global_load_b128 v[24:27], v[26:27], off offset:192
	v_mul_f32_e32 v58, v44, v33
	global_wb scope:SCOPE_SE
	s_wait_loadcnt 0x0
	s_barrier_signal -1
	s_barrier_wait -1
	global_inv scope:SCOPE_SE
	v_fmac_f32_e32 v58, v45, v32
	s_delay_alu instid0(VALU_DEP_1) | instskip(SKIP_1) | instid1(VALU_DEP_2)
	v_dual_sub_f32 v61, v58, v59 :: v_dual_and_b32 v56, 0xffff, v56
	v_add_f32_e32 v60, v37, v58
	v_mul_u32_u24_e32 v56, 0x51, v56
	s_delay_alu instid0(VALU_DEP_1) | instskip(SKIP_2) | instid1(VALU_DEP_2)
	v_add_lshl_u32 v107, v56, v57, 3
	v_mul_f32_e32 v56, v45, v33
	v_mul_f32_e32 v57, v41, v35
	v_fma_f32 v44, v44, v32, -v56
	s_delay_alu instid0(VALU_DEP_2) | instskip(SKIP_2) | instid1(VALU_DEP_4)
	v_fma_f32 v40, v40, v34, -v57
	v_add_f32_e32 v57, v58, v59
	v_add_f32_e32 v59, v60, v59
	;; [unrolled: 1-line block ×3, first 2 shown]
	s_delay_alu instid0(VALU_DEP_4) | instskip(NEXT) | instid1(VALU_DEP_4)
	v_add_f32_e32 v41, v44, v40
	v_fma_f32 v57, -0.5, v57, v37
	s_delay_alu instid0(VALU_DEP_2) | instskip(SKIP_1) | instid1(VALU_DEP_2)
	v_fma_f32 v56, -0.5, v41, v36
	v_sub_f32_e32 v36, v44, v40
	v_fmamk_f32 v60, v61, 0x3f5db3d7, v56
	v_dual_fmac_f32 v56, 0xbf5db3d7, v61 :: v_dual_mul_f32 v41, v43, v31
	v_mul_f32_e32 v63, v49, v27
	v_dual_mul_f32 v37, v47, v29 :: v_dual_add_f32 v58, v45, v40
	v_fmamk_f32 v61, v36, 0xbf5db3d7, v57
	v_dual_fmac_f32 v57, 0x3f5db3d7, v36 :: v_dual_mul_f32 v62, v42, v31
	v_mul_f32_e32 v45, v53, v25
	v_mul_f32_e32 v40, v52, v25
	v_fma_f32 v42, v42, v30, -v41
	v_mul_f32_e32 v36, v48, v27
	s_delay_alu instid0(VALU_DEP_4) | instskip(NEXT) | instid1(VALU_DEP_4)
	v_fma_f32 v41, v52, v24, -v45
	v_fmac_f32_e32 v40, v53, v24
	s_delay_alu instid0(VALU_DEP_3) | instskip(SKIP_3) | instid1(VALU_DEP_4)
	v_fmac_f32_e32 v36, v49, v26
	v_mul_f32_e32 v44, v46, v29
	v_fma_f32 v46, v46, v28, -v37
	v_fma_f32 v37, v48, v26, -v63
	v_dual_fmac_f32 v62, v43, v30 :: v_dual_sub_f32 v43, v40, v36
	s_delay_alu instid0(VALU_DEP_3) | instskip(NEXT) | instid1(VALU_DEP_3)
	v_dual_fmac_f32 v44, v47, v28 :: v_dual_sub_f32 v53, v46, v42
	v_add_f32_e32 v63, v41, v37
	v_sub_f32_e32 v45, v41, v37
	v_add_f32_e32 v47, v38, v46
	s_delay_alu instid0(VALU_DEP_4) | instskip(SKIP_1) | instid1(VALU_DEP_1)
	v_dual_sub_f32 v49, v44, v62 :: v_dual_add_f32 v52, v39, v44
	v_add_f32_e32 v44, v44, v62
	v_dual_fmac_f32 v39, -0.5, v44 :: v_dual_add_f32 v48, v46, v42
	v_add_f32_e32 v64, v40, v36
	v_add_f32_e32 v46, v47, v42
	v_fma_f32 v42, -0.5, v63, v50
	s_delay_alu instid0(VALU_DEP_4) | instskip(NEXT) | instid1(VALU_DEP_4)
	v_fma_f32 v38, -0.5, v48, v38
	v_fma_f32 v44, -0.5, v64, v51
	s_delay_alu instid0(VALU_DEP_3) | instskip(NEXT) | instid1(VALU_DEP_3)
	v_fmamk_f32 v91, v43, 0xbf5db3d7, v42
	v_fmamk_f32 v48, v49, 0x3f5db3d7, v38
	v_dual_fmac_f32 v38, 0xbf5db3d7, v49 :: v_dual_fmamk_f32 v49, v53, 0xbf5db3d7, v39
	v_fmac_f32_e32 v39, 0x3f5db3d7, v53
	v_dual_add_f32 v47, v52, v62 :: v_dual_fmamk_f32 v92, v45, 0x3f5db3d7, v44
	ds_store_2addr_b64 v107, v[58:59], v[60:61] offset1:27
	ds_store_b64 v107, v[56:57] offset:432
	ds_store_2addr_b64 v108, v[46:47], v[48:49] offset1:27
	ds_store_b64 v108, v[38:39] offset:432
	s_and_saveexec_b32 s2, vcc_lo
	s_cbranch_execz .LBB0_19
; %bb.18:
	v_dual_add_f32 v38, v51, v40 :: v_dual_add_f32 v39, v50, v41
	v_dual_mul_f32 v40, 0x3f5db3d7, v45 :: v_dual_mul_f32 v41, 0x3f5db3d7, v43
	s_delay_alu instid0(VALU_DEP_2) | instskip(NEXT) | instid1(VALU_DEP_2)
	v_dual_add_f32 v38, v38, v36 :: v_dual_and_b32 v43, 0xffff, v106
	v_dual_add_f32 v37, v39, v37 :: v_dual_sub_f32 v40, v44, v40
	s_delay_alu instid0(VALU_DEP_2)
	v_dual_add_f32 v39, v41, v42 :: v_dual_lshlrev_b32 v36, 3, v43
	ds_store_2addr_b64 v36, v[37:38], v[39:40] offset1:27
	ds_store_b64 v36, v[91:92] offset:432
.LBB0_19:
	s_wait_alu 0xfffe
	s_or_b32 exec_lo, exec_lo, s2
	v_mul_lo_u16 v36, 0xcb, v55
	global_wb scope:SCOPE_SE
	s_wait_dscnt 0x0
	s_barrier_signal -1
	s_barrier_wait -1
	global_inv scope:SCOPE_SE
	v_lshrrev_b16 v52, 14, v36
	s_delay_alu instid0(VALU_DEP_1) | instskip(NEXT) | instid1(VALU_DEP_1)
	v_mul_lo_u16 v36, 0x51, v52
	v_sub_nc_u16 v36, v96, v36
	s_delay_alu instid0(VALU_DEP_1) | instskip(NEXT) | instid1(VALU_DEP_1)
	v_and_b32_e32 v53, 0xff, v36
	v_mad_co_u64_u32 v[48:49], null, v53, 56, s[0:1]
	s_clause 0x3
	global_load_b128 v[44:47], v[48:49], off offset:624
	global_load_b128 v[40:43], v[48:49], off offset:640
	;; [unrolled: 1-line block ×3, first 2 shown]
	global_load_b64 v[87:88], v[48:49], off offset:672
	v_add_nc_u32_e32 v55, 0xf00, v95
	v_add_nc_u32_e32 v59, 0x1e00, v95
	;; [unrolled: 1-line block ×3, first 2 shown]
	ds_load_2addr_b64 v[48:51], v95 offset1:243
	v_and_b32_e32 v52, 0xffff, v52
	ds_load_2addr_b64 v[55:58], v55 offset0:6 offset1:249
	ds_load_2addr_b64 v[59:62], v59 offset0:12 offset1:255
	;; [unrolled: 1-line block ×3, first 2 shown]
	v_add_nc_u32_e32 v112, 0x2880, v95
	global_wb scope:SCOPE_SE
	s_wait_loadcnt_dscnt 0x0
	v_mul_u32_u24_e32 v52, 0x288, v52
	s_barrier_signal -1
	s_barrier_wait -1
	global_inv scope:SCOPE_SE
	v_add_lshl_u32 v109, v52, v53, 3
	s_delay_alu instid0(VALU_DEP_1)
	v_add_nc_u32_e32 v68, 0x800, v109
	v_dual_mul_f32 v70, v56, v47 :: v_dual_add_nc_u32 v69, 0xc00, v109
	v_mul_f32_e32 v53, v50, v45
	v_mul_f32_e32 v71, v55, v47
	v_dual_mul_f32 v116, v63, v39 :: v_dual_mul_f32 v117, v66, v88
	v_mul_f32_e32 v118, v65, v88
	v_mul_f32_e32 v52, v51, v45
	v_dual_mul_f32 v89, v58, v41 :: v_dual_mul_f32 v94, v59, v43
	v_mul_f32_e32 v113, v62, v37
	v_dual_mul_f32 v114, v61, v37 :: v_dual_mul_f32 v93, v60, v43
	s_delay_alu instid0(VALU_DEP_3)
	v_dual_fmac_f32 v53, v51, v44 :: v_dual_fmac_f32 v94, v60, v42
	v_fma_f32 v51, v55, v46, -v70
	v_dual_fmac_f32 v71, v56, v46 :: v_dual_fmac_f32 v118, v66, v87
	v_fmac_f32_e32 v116, v64, v38
	v_dual_mul_f32 v115, v64, v39 :: v_dual_mul_f32 v90, v57, v41
	v_fma_f32 v50, v50, v44, -v52
	v_fma_f32 v52, v57, v40, -v89
	s_delay_alu instid0(VALU_DEP_4)
	v_sub_f32_e32 v60, v71, v116
	v_fma_f32 v56, v61, v36, -v113
	v_fmac_f32_e32 v114, v62, v36
	v_fma_f32 v55, v59, v42, -v93
	v_fma_f32 v57, v63, v38, -v115
	v_dual_fmac_f32 v90, v58, v40 :: v_dual_add_nc_u32 v67, 0x1400, v95
	v_fma_f32 v58, v65, v87, -v117
	s_delay_alu instid0(VALU_DEP_4) | instskip(SKIP_3) | instid1(VALU_DEP_4)
	v_dual_sub_f32 v55, v48, v55 :: v_dual_sub_f32 v56, v50, v56
	v_sub_f32_e32 v59, v49, v94
	v_sub_f32_e32 v57, v51, v57
	v_fma_f32 v63, v71, 2.0, -v60
	v_sub_f32_e32 v60, v55, v60
	v_sub_f32_e32 v58, v52, v58
	v_fma_f32 v48, v48, 2.0, -v55
	v_fma_f32 v51, v51, 2.0, -v57
	v_add_f32_e32 v57, v59, v57
	v_sub_f32_e32 v61, v53, v114
	v_sub_f32_e32 v62, v90, v118
	v_fma_f32 v50, v50, 2.0, -v56
	v_sub_f32_e32 v65, v48, v51
	v_fma_f32 v52, v52, 2.0, -v58
	v_add_f32_e32 v58, v61, v58
	v_fma_f32 v49, v49, 2.0, -v59
	v_fma_f32 v64, v90, 2.0, -v62
	s_delay_alu instid0(VALU_DEP_4) | instskip(NEXT) | instid1(VALU_DEP_3)
	v_dual_sub_f32 v62, v56, v62 :: v_dual_sub_f32 v51, v50, v52
	v_dual_fmamk_f32 v94, v58, 0x3f3504f3, v57 :: v_dual_sub_f32 v63, v49, v63
	v_fma_f32 v53, v53, 2.0, -v61
	v_fma_f32 v66, v55, 2.0, -v60
	;; [unrolled: 1-line block ×5, first 2 shown]
	v_dual_sub_f32 v52, v53, v64 :: v_dual_fmamk_f32 v93, v62, 0x3f3504f3, v60
	v_fma_f32 v59, v48, 2.0, -v65
	v_fma_f32 v61, v49, 2.0, -v63
	;; [unrolled: 1-line block ×3, first 2 shown]
	s_delay_alu instid0(VALU_DEP_4) | instskip(SKIP_2) | instid1(VALU_DEP_2)
	v_fma_f32 v53, v53, 2.0, -v52
	v_dual_fmamk_f32 v48, v55, 0xbf3504f3, v66 :: v_dual_sub_f32 v89, v65, v52
	v_dual_fmamk_f32 v49, v56, 0xbf3504f3, v70 :: v_dual_add_f32 v90, v63, v51
	v_dual_fmac_f32 v93, 0xbf3504f3, v58 :: v_dual_fmac_f32 v48, 0xbf3504f3, v56
	s_delay_alu instid0(VALU_DEP_4) | instskip(NEXT) | instid1(VALU_DEP_3)
	v_dual_fmac_f32 v94, 0x3f3504f3, v62 :: v_dual_sub_f32 v51, v61, v53
	v_dual_sub_f32 v50, v59, v50 :: v_dual_fmac_f32 v49, 0x3f3504f3, v55
	v_fma_f32 v52, v65, 2.0, -v89
	v_fma_f32 v53, v63, 2.0, -v90
	;; [unrolled: 1-line block ×8, first 2 shown]
	ds_store_2addr_b64 v69, v[89:90], v[93:94] offset0:102 offset1:183
	ds_store_2addr_b64 v109, v[52:53], v[55:56] offset0:162 offset1:243
	ds_store_2addr_b64 v68, v[50:51], v[48:49] offset0:68 offset1:149
	ds_store_2addr_b64 v109, v[57:58], v[59:60] offset1:81
	global_wb scope:SCOPE_SE
	s_wait_dscnt 0x0
	s_barrier_signal -1
	s_barrier_wait -1
	global_inv scope:SCOPE_SE
	ds_load_2addr_b64 v[60:63], v95 offset1:243
	ds_load_2addr_b64 v[68:71], v67 offset0:8 offset1:251
	ds_load_2addr_b64 v[64:67], v112 offset1:243
	s_and_saveexec_b32 s2, vcc_lo
	s_cbranch_execz .LBB0_21
; %bb.20:
	ds_load_b64 v[89:90], v95 offset:3888
	ds_load_b64 v[93:94], v95 offset:9072
	;; [unrolled: 1-line block ×3, first 2 shown]
.LBB0_21:
	s_wait_alu 0xfffe
	s_or_b32 exec_lo, exec_lo, s2
	v_lshlrev_b32_e32 v48, 4, v96
	v_lshlrev_b32_e32 v49, 4, v54
	s_clause 0x1
	global_load_b128 v[56:59], v48, s[0:1] offset:5160
	global_load_b128 v[52:55], v49, s[0:1] offset:5160
	v_add_co_u32 v48, s2, 0xffffff5e, v96
	s_wait_alu 0xf1ff
	v_add_co_ci_u32_e64 v49, null, 0, -1, s2
	s_delay_alu instid0(VALU_DEP_1)
	v_dual_cndmask_b32 v48, v48, v110 :: v_dual_cndmask_b32 v49, v49, v111
	s_wait_loadcnt_dscnt 0x101
	v_mul_f32_e32 v110, v69, v57
	s_wait_loadcnt 0x0
	v_mul_f32_e32 v115, v70, v53
	v_lshlrev_b64_e32 v[48:49], 4, v[48:49]
	s_wait_dscnt 0x0
	v_dual_mul_f32 v111, v68, v57 :: v_dual_mul_f32 v112, v65, v59
	v_dual_mul_f32 v113, v64, v59 :: v_dual_mul_f32 v114, v71, v53
	s_delay_alu instid0(VALU_DEP_2) | instskip(NEXT) | instid1(VALU_DEP_4)
	v_dual_mul_f32 v116, v67, v55 :: v_dual_fmac_f32 v111, v69, v56
	v_add_co_u32 v48, s0, s0, v48
	s_wait_alu 0xf1ff
	v_add_co_ci_u32_e64 v49, s0, s1, v49, s0
	v_fma_f32 v68, v68, v56, -v110
	v_fmac_f32_e32 v113, v65, v58
	v_mul_f32_e32 v117, v66, v55
	global_load_b128 v[48:51], v[48:49], off offset:5160
	v_fma_f32 v64, v64, v58, -v112
	v_fma_f32 v65, v70, v52, -v114
	v_sub_f32_e32 v70, v111, v113
	v_fma_f32 v66, v66, v54, -v116
	v_fmac_f32_e32 v117, v67, v54
	v_dual_add_f32 v67, v60, v68 :: v_dual_add_f32 v110, v111, v113
	s_delay_alu instid0(VALU_DEP_3) | instskip(SKIP_2) | instid1(VALU_DEP_4)
	v_dual_fmac_f32 v115, v71, v52 :: v_dual_add_f32 v112, v65, v66
	v_add_f32_e32 v71, v61, v111
	v_sub_f32_e32 v111, v68, v64
	v_fma_f32 v61, -0.5, v110, v61
	s_delay_alu instid0(VALU_DEP_4)
	v_add_f32_e32 v116, v63, v115
	v_sub_f32_e32 v118, v65, v66
	s_wait_loadcnt 0x0
	v_dual_mul_f32 v110, v93, v49 :: v_dual_add_f32 v69, v68, v64
	v_sub_f32_e32 v114, v115, v117
	v_add_f32_e32 v68, v62, v65
	v_add_f32_e32 v115, v115, v117
	;; [unrolled: 1-line block ×3, first 2 shown]
	v_fma_f32 v60, -0.5, v69, v60
	s_delay_alu instid0(VALU_DEP_4)
	v_dual_add_f32 v65, v71, v113 :: v_dual_add_f32 v66, v68, v66
	v_fma_f32 v62, -0.5, v112, v62
	v_dual_mul_f32 v71, v94, v49 :: v_dual_mul_f32 v112, v92, v51
	v_mul_f32_e32 v113, v91, v51
	v_dual_add_f32 v67, v116, v117 :: v_dual_fmamk_f32 v68, v70, 0x3f5db3d7, v60
	v_dual_fmac_f32 v63, -0.5, v115 :: v_dual_fmac_f32 v60, 0xbf5db3d7, v70
	v_fmamk_f32 v69, v111, 0xbf5db3d7, v61
	v_dual_fmac_f32 v61, 0x3f5db3d7, v111 :: v_dual_fmac_f32 v110, v94, v48
	v_fmamk_f32 v70, v114, 0x3f5db3d7, v62
	v_fma_f32 v93, v93, v48, -v71
	v_fma_f32 v91, v91, v50, -v112
	v_fmac_f32_e32 v113, v92, v50
	v_dual_fmac_f32 v62, 0xbf5db3d7, v114 :: v_dual_fmamk_f32 v71, v118, 0xbf5db3d7, v63
	s_delay_alu instid0(VALU_DEP_4) | instskip(NEXT) | instid1(VALU_DEP_3)
	v_add_f32_e32 v94, v89, v93
	v_dual_add_f32 v92, v93, v91 :: v_dual_add_f32 v111, v110, v113
	v_dual_sub_f32 v114, v93, v91 :: v_dual_fmac_f32 v63, 0x3f5db3d7, v118
	v_sub_f32_e32 v112, v110, v113
	s_delay_alu instid0(VALU_DEP_3) | instskip(NEXT) | instid1(VALU_DEP_4)
	v_dual_add_f32 v110, v90, v110 :: v_dual_fmac_f32 v89, -0.5, v92
	v_fmac_f32_e32 v90, -0.5, v111
	ds_store_b64 v95, v[68:69] offset:5184
	ds_store_b64 v95, v[60:61] offset:10368
	ds_store_2addr_b64 v95, v[64:65], v[66:67] offset1:243
	ds_store_b64 v95, v[70:71] offset:7128
	ds_store_b64 v95, v[62:63] offset:12312
	v_dual_add_f32 v92, v110, v113 :: v_dual_fmamk_f32 v93, v112, 0x3f5db3d7, v89
	v_fmac_f32_e32 v89, 0xbf5db3d7, v112
	v_add_f32_e32 v91, v94, v91
	v_fmamk_f32 v94, v114, 0xbf5db3d7, v90
	v_fmac_f32_e32 v90, 0x3f5db3d7, v114
	s_and_saveexec_b32 s0, vcc_lo
	s_cbranch_execz .LBB0_23
; %bb.22:
	ds_store_b64 v95, v[91:92] offset:3888
	ds_store_b64 v95, v[93:94] offset:9072
	;; [unrolled: 1-line block ×3, first 2 shown]
.LBB0_23:
	s_wait_alu 0xfffe
	s_or_b32 exec_lo, exec_lo, s0
	s_add_nc_u64 s[0:1], s[16:17], 0x3cc0
	global_wb scope:SCOPE_SE
	s_wait_dscnt 0x0
	s_barrier_signal -1
	s_barrier_wait -1
	global_inv scope:SCOPE_SE
	s_clause 0x5
	global_load_b64 v[64:65], v[73:74], off offset:15552
	global_load_b64 v[66:67], v95, s[0:1] offset:7128
	global_load_b64 v[69:70], v95, s[0:1] offset:1944
	;; [unrolled: 1-line block ×5, first 2 shown]
	ds_load_2addr_b64 v[60:63], v95 offset1:243
	s_wait_loadcnt_dscnt 0x500
	v_mul_f32_e32 v68, v61, v65
	v_mul_f32_e32 v71, v60, v65
	s_wait_loadcnt 0x3
	v_mul_f32_e32 v65, v63, v70
	v_mul_f32_e32 v121, v62, v70
	v_fma_f32 v70, v60, v64, -v68
	v_dual_fmac_f32 v71, v61, v64 :: v_dual_add_nc_u32 v68, 0x2880, v95
	v_add_nc_u32_e32 v64, 0x1400, v95
	v_fma_f32 v120, v62, v69, -v65
	v_fmac_f32_e32 v121, v63, v69
	ds_store_b64 v95, v[70:71]
	ds_load_2addr_b64 v[60:63], v64 offset0:8 offset1:251
	ds_load_2addr_b64 v[110:113], v68 offset1:243
	s_wait_loadcnt_dscnt 0x201
	v_mul_f32_e32 v65, v61, v115
	s_wait_loadcnt_dscnt 0x100
	v_dual_mul_f32 v70, v60, v115 :: v_dual_mul_f32 v71, v111, v117
	v_dual_mul_f32 v115, v110, v117 :: v_dual_mul_f32 v122, v63, v67
	v_mul_f32_e32 v117, v62, v67
	s_wait_loadcnt 0x0
	v_mul_f32_e32 v123, v113, v119
	v_mul_f32_e32 v67, v112, v119
	v_fma_f32 v69, v60, v114, -v65
	v_fmac_f32_e32 v70, v61, v114
	v_fma_f32 v114, v110, v116, -v71
	v_fmac_f32_e32 v115, v111, v116
	;; [unrolled: 2-line block ×4, first 2 shown]
	ds_store_b64 v95, v[120:121] offset:1944
	ds_store_2addr_b64 v64, v[69:70], v[116:117] offset0:8 offset1:251
	ds_store_2addr_b64 v68, v[114:115], v[66:67] offset1:243
	s_and_saveexec_b32 s2, vcc_lo
	s_cbranch_execz .LBB0_25
; %bb.24:
	s_wait_alu 0xfffe
	v_add_co_u32 v60, s0, s0, v95
	s_wait_alu 0xf1ff
	v_add_co_ci_u32_e64 v61, null, s1, 0, s0
	s_clause 0x2
	global_load_b64 v[62:63], v[60:61], off offset:3888
	global_load_b64 v[65:66], v[60:61], off offset:9072
	;; [unrolled: 1-line block ×3, first 2 shown]
	ds_load_b64 v[69:70], v95 offset:3888
	ds_load_b64 v[110:111], v95 offset:9072
	;; [unrolled: 1-line block ×3, first 2 shown]
	s_wait_loadcnt_dscnt 0x101
	v_dual_mul_f32 v114, v70, v63 :: v_dual_mul_f32 v115, v111, v66
	v_mul_f32_e32 v67, v69, v63
	s_wait_loadcnt_dscnt 0x0
	v_dual_mul_f32 v63, v110, v66 :: v_dual_mul_f32 v116, v113, v61
	v_mul_f32_e32 v71, v112, v61
	v_fma_f32 v66, v69, v62, -v114
	v_fmac_f32_e32 v67, v70, v62
	v_fma_f32 v62, v110, v65, -v115
	v_fmac_f32_e32 v63, v111, v65
	v_fma_f32 v70, v112, v60, -v116
	v_fmac_f32_e32 v71, v113, v60
	ds_store_b64 v95, v[66:67] offset:3888
	ds_store_b64 v95, v[62:63] offset:9072
	;; [unrolled: 1-line block ×3, first 2 shown]
.LBB0_25:
	s_wait_alu 0xfffe
	s_or_b32 exec_lo, exec_lo, s2
	global_wb scope:SCOPE_SE
	s_wait_dscnt 0x0
	s_barrier_signal -1
	s_barrier_wait -1
	global_inv scope:SCOPE_SE
	ds_load_2addr_b64 v[60:63], v95 offset1:243
	ds_load_2addr_b64 v[64:67], v64 offset0:8 offset1:251
	ds_load_2addr_b64 v[68:71], v68 offset1:243
	s_and_saveexec_b32 s0, vcc_lo
	s_cbranch_execz .LBB0_27
; %bb.26:
	ds_load_b64 v[91:92], v95 offset:3888
	ds_load_b64 v[93:94], v95 offset:9072
	;; [unrolled: 1-line block ×3, first 2 shown]
.LBB0_27:
	s_wait_alu 0xfffe
	s_or_b32 exec_lo, exec_lo, s0
	s_wait_dscnt 0x0
	v_dual_add_f32 v110, v64, v68 :: v_dual_add_f32 v113, v65, v69
	v_dual_add_f32 v111, v60, v64 :: v_dual_sub_f32 v112, v65, v69
	v_add_f32_e32 v65, v61, v65
	s_delay_alu instid0(VALU_DEP_3) | instskip(SKIP_1) | instid1(VALU_DEP_4)
	v_fma_f32 v60, -0.5, v110, v60
	v_sub_f32_e32 v110, v64, v68
	v_add_f32_e32 v64, v111, v68
	v_fma_f32 v61, -0.5, v113, v61
	s_delay_alu instid0(VALU_DEP_4) | instskip(SKIP_1) | instid1(VALU_DEP_3)
	v_dual_add_f32 v65, v65, v69 :: v_dual_fmamk_f32 v68, v112, 0xbf5db3d7, v60
	v_dual_add_f32 v111, v66, v70 :: v_dual_fmac_f32 v60, 0x3f5db3d7, v112
	v_fmamk_f32 v69, v110, 0x3f5db3d7, v61
	v_dual_add_f32 v112, v62, v66 :: v_dual_add_f32 v113, v67, v71
	s_delay_alu instid0(VALU_DEP_3) | instskip(SKIP_2) | instid1(VALU_DEP_4)
	v_fma_f32 v62, -0.5, v111, v62
	v_sub_f32_e32 v111, v67, v71
	v_fmac_f32_e32 v61, 0xbf5db3d7, v110
	v_dual_add_f32 v110, v112, v70 :: v_dual_add_f32 v67, v63, v67
	v_dual_sub_f32 v70, v66, v70 :: v_dual_fmac_f32 v63, -0.5, v113
	s_delay_alu instid0(VALU_DEP_4) | instskip(SKIP_1) | instid1(VALU_DEP_4)
	v_fmamk_f32 v66, v111, 0xbf5db3d7, v62
	v_fmac_f32_e32 v62, 0x3f5db3d7, v111
	v_add_f32_e32 v111, v67, v71
	v_add_f32_e32 v71, v93, v89
	v_dual_fmamk_f32 v67, v70, 0x3f5db3d7, v63 :: v_dual_add_f32 v112, v93, v91
	v_fmac_f32_e32 v63, 0xbf5db3d7, v70
	s_delay_alu instid0(VALU_DEP_3)
	v_dual_add_f32 v70, v94, v90 :: v_dual_fmac_f32 v91, -0.5, v71
	v_sub_f32_e32 v71, v94, v90
	v_add_f32_e32 v94, v94, v92
	global_wb scope:SCOPE_SE
	v_fmac_f32_e32 v92, -0.5, v70
	v_sub_f32_e32 v70, v93, v89
	v_dual_add_f32 v89, v89, v112 :: v_dual_add_f32 v90, v90, v94
	v_fmamk_f32 v93, v71, 0xbf5db3d7, v91
	s_delay_alu instid0(VALU_DEP_3)
	v_dual_fmac_f32 v91, 0x3f5db3d7, v71 :: v_dual_fmamk_f32 v94, v70, 0x3f5db3d7, v92
	v_fmac_f32_e32 v92, 0xbf5db3d7, v70
	s_barrier_signal -1
	s_barrier_wait -1
	global_inv scope:SCOPE_SE
	ds_store_2addr_b64 v99, v[64:65], v[68:69] offset1:1
	ds_store_b64 v99, v[60:61] offset:16
	ds_store_2addr_b64 v97, v[110:111], v[66:67] offset1:1
	ds_store_b64 v97, v[62:63] offset:16
	s_and_saveexec_b32 s0, vcc_lo
	s_cbranch_execz .LBB0_29
; %bb.28:
	v_lshlrev_b32_e32 v60, 3, v98
	ds_store_2addr_b64 v60, v[89:90], v[93:94] offset1:1
	ds_store_b64 v60, v[91:92] offset:16
.LBB0_29:
	s_wait_alu 0xfffe
	s_or_b32 exec_lo, exec_lo, s0
	v_add_nc_u32_e32 v64, 0x1400, v95
	v_add_nc_u32_e32 v65, 0x2880, v95
	global_wb scope:SCOPE_SE
	s_wait_dscnt 0x0
	s_barrier_signal -1
	s_barrier_wait -1
	global_inv scope:SCOPE_SE
	ds_load_2addr_b64 v[60:63], v95 offset1:243
	ds_load_2addr_b64 v[68:71], v64 offset0:8 offset1:251
	ds_load_2addr_b64 v[64:67], v65 offset1:243
	s_and_saveexec_b32 s0, vcc_lo
	s_cbranch_execz .LBB0_31
; %bb.30:
	ds_load_b64 v[89:90], v95 offset:3888
	ds_load_b64 v[93:94], v95 offset:9072
	;; [unrolled: 1-line block ×3, first 2 shown]
.LBB0_31:
	s_wait_alu 0xfffe
	s_or_b32 exec_lo, exec_lo, s0
	s_wait_dscnt 0x0
	v_mul_f32_e32 v98, v11, v65
	v_mul_f32_e32 v97, v9, v69
	global_wb scope:SCOPE_SE
	s_barrier_signal -1
	s_barrier_wait -1
	v_fmac_f32_e32 v98, v10, v64
	v_fmac_f32_e32 v97, v8, v68
	v_mul_f32_e32 v11, v11, v64
	global_inv scope:SCOPE_SE
	v_fma_f32 v10, v10, v65, -v11
	v_mul_f32_e32 v11, v7, v67
	v_mul_f32_e32 v7, v7, v66
	;; [unrolled: 1-line block ×3, first 2 shown]
	s_delay_alu instid0(VALU_DEP_2) | instskip(SKIP_4) | instid1(VALU_DEP_4)
	v_fma_f32 v7, v6, v67, -v7
	v_mul_f32_e32 v1, v1, v93
	v_dual_fmac_f32 v11, v6, v66 :: v_dual_mul_f32 v66, v3, v92
	v_mul_f32_e32 v9, v9, v68
	v_fmac_f32_e32 v65, v0, v93
	v_fma_f32 v67, v0, v94, -v1
	v_add_f32_e32 v0, v97, v98
	v_fmac_f32_e32 v66, v2, v91
	v_fma_f32 v8, v8, v69, -v9
	s_delay_alu instid0(VALU_DEP_3) | instskip(SKIP_1) | instid1(VALU_DEP_1)
	v_fma_f32 v0, -0.5, v0, v60
	v_mul_f32_e32 v9, v5, v71
	v_dual_add_f32 v6, v61, v8 :: v_dual_fmac_f32 v9, v4, v70
	v_mul_f32_e32 v5, v5, v70
	v_add_f32_e32 v1, v60, v97
	s_delay_alu instid0(VALU_DEP_2) | instskip(SKIP_1) | instid1(VALU_DEP_2)
	v_fma_f32 v64, v4, v71, -v5
	v_sub_f32_e32 v5, v8, v10
	v_sub_f32_e32 v60, v64, v7
	s_delay_alu instid0(VALU_DEP_2) | instskip(SKIP_1) | instid1(VALU_DEP_2)
	v_dual_mul_f32 v3, v3, v91 :: v_dual_fmamk_f32 v4, v5, 0xbf5db3d7, v0
	v_fmac_f32_e32 v0, 0x3f5db3d7, v5
	v_fma_f32 v68, v2, v92, -v3
	v_add_f32_e32 v3, v8, v10
	v_add_f32_e32 v2, v1, v98
	v_sub_f32_e32 v8, v97, v98
	s_delay_alu instid0(VALU_DEP_3) | instskip(SKIP_2) | instid1(VALU_DEP_3)
	v_fma_f32 v1, -0.5, v3, v61
	v_add_f32_e32 v3, v6, v10
	v_dual_add_f32 v10, v62, v9 :: v_dual_add_f32 v61, v67, v90
	v_fmamk_f32 v5, v8, 0x3f5db3d7, v1
	v_dual_fmac_f32 v1, 0xbf5db3d7, v8 :: v_dual_add_f32 v8, v64, v7
	s_delay_alu instid0(VALU_DEP_3) | instskip(NEXT) | instid1(VALU_DEP_1)
	v_dual_add_f32 v6, v9, v11 :: v_dual_add_f32 v61, v68, v61
	v_fma_f32 v62, -0.5, v6, v62
	v_add_f32_e32 v6, v10, v11
	v_add_f32_e32 v10, v63, v64
	v_fmac_f32_e32 v63, -0.5, v8
	s_delay_alu instid0(VALU_DEP_4) | instskip(SKIP_1) | instid1(VALU_DEP_4)
	v_dual_sub_f32 v11, v9, v11 :: v_dual_fmamk_f32 v8, v60, 0xbf5db3d7, v62
	v_fmac_f32_e32 v62, 0x3f5db3d7, v60
	v_dual_add_f32 v60, v65, v89 :: v_dual_add_f32 v7, v10, v7
	v_add_f32_e32 v10, v65, v66
	s_delay_alu instid0(VALU_DEP_2) | instskip(NEXT) | instid1(VALU_DEP_2)
	v_add_f32_e32 v60, v60, v66
	v_dual_fmac_f32 v89, -0.5, v10 :: v_dual_sub_f32 v10, v67, v68
	v_fmamk_f32 v9, v11, 0x3f5db3d7, v63
	v_fmac_f32_e32 v63, 0xbf5db3d7, v11
	v_add_f32_e32 v11, v67, v68
	ds_store_2addr_b64 v102, v[2:3], v[4:5] offset1:3
	ds_store_b64 v102, v[0:1] offset:48
	ds_store_2addr_b64 v101, v[6:7], v[8:9] offset1:3
	ds_store_b64 v101, v[62:63] offset:48
	v_fmamk_f32 v64, v10, 0xbf5db3d7, v89
	v_dual_fmac_f32 v90, -0.5, v11 :: v_dual_sub_f32 v11, v65, v66
	s_delay_alu instid0(VALU_DEP_1)
	v_fmamk_f32 v65, v11, 0x3f5db3d7, v90
	v_fmac_f32_e32 v90, 0xbf5db3d7, v11
	v_fmac_f32_e32 v89, 0x3f5db3d7, v10
	s_and_saveexec_b32 s0, vcc_lo
	s_cbranch_execz .LBB0_33
; %bb.32:
	v_and_b32_e32 v0, 0xffff, v100
	s_delay_alu instid0(VALU_DEP_1)
	v_lshlrev_b32_e32 v0, 3, v0
	ds_store_2addr_b64 v0, v[60:61], v[64:65] offset1:3
	ds_store_b64 v0, v[89:90] offset:48
.LBB0_33:
	s_wait_alu 0xfffe
	s_or_b32 exec_lo, exec_lo, s0
	v_add_nc_u32_e32 v4, 0x1400, v95
	v_add_nc_u32_e32 v5, 0x2880, v95
	global_wb scope:SCOPE_SE
	s_wait_dscnt 0x0
	s_barrier_signal -1
	s_barrier_wait -1
	global_inv scope:SCOPE_SE
	ds_load_2addr_b64 v[0:3], v95 offset1:243
	ds_load_2addr_b64 v[8:11], v4 offset0:8 offset1:251
	ds_load_2addr_b64 v[4:7], v5 offset1:243
	s_and_saveexec_b32 s0, vcc_lo
	s_cbranch_execz .LBB0_35
; %bb.34:
	ds_load_b64 v[60:61], v95 offset:3888
	ds_load_b64 v[64:65], v95 offset:9072
	;; [unrolled: 1-line block ×3, first 2 shown]
.LBB0_35:
	s_wait_alu 0xfffe
	s_or_b32 exec_lo, exec_lo, s0
	s_wait_dscnt 0x1
	v_mul_f32_e32 v62, v21, v9
	v_mul_f32_e32 v21, v21, v8
	s_wait_dscnt 0x0
	v_mul_f32_e32 v63, v23, v5
	v_mul_f32_e32 v23, v23, v4
	global_wb scope:SCOPE_SE
	v_fmac_f32_e32 v62, v20, v8
	v_fma_f32 v8, v20, v9, -v21
	v_mul_f32_e32 v9, v17, v11
	v_dual_fmac_f32 v63, v22, v4 :: v_dual_mul_f32 v4, v17, v10
	v_mul_f32_e32 v17, v19, v7
	v_fma_f32 v5, v22, v5, -v23
	s_delay_alu instid0(VALU_DEP_4) | instskip(SKIP_4) | instid1(VALU_DEP_4)
	v_fmac_f32_e32 v9, v16, v10
	v_mul_f32_e32 v10, v19, v6
	v_fma_f32 v11, v16, v11, -v4
	v_mul_f32_e32 v4, v13, v64
	v_dual_mul_f32 v16, v13, v65 :: v_dual_fmac_f32 v17, v18, v6
	v_fma_f32 v13, v18, v7, -v10
	v_dual_mul_f32 v6, v15, v89 :: v_dual_add_f32 v7, v0, v62
	s_delay_alu instid0(VALU_DEP_3)
	v_fmac_f32_e32 v16, v12, v64
	v_fma_f32 v12, v12, v65, -v4
	v_add_f32_e32 v4, v62, v63
	v_mul_f32_e32 v18, v15, v90
	v_fma_f32 v15, v14, v90, -v6
	v_add_f32_e32 v6, v8, v5
	v_sub_f32_e32 v10, v8, v5
	v_fma_f32 v0, -0.5, v4, v0
	v_dual_add_f32 v4, v7, v63 :: v_dual_add_f32 v7, v1, v8
	s_delay_alu instid0(VALU_DEP_4) | instskip(SKIP_4) | instid1(VALU_DEP_2)
	v_fma_f32 v1, -0.5, v6, v1
	v_sub_f32_e32 v8, v62, v63
	s_barrier_signal -1
	s_barrier_wait -1
	v_add_f32_e32 v5, v7, v5
	v_dual_fmac_f32 v18, v14, v89 :: v_dual_fmamk_f32 v7, v8, 0x3f5db3d7, v1
	v_dual_add_f32 v14, v2, v9 :: v_dual_fmac_f32 v1, 0xbf5db3d7, v8
	global_inv scope:SCOPE_SE
	v_add_f32_e32 v8, v14, v17
	v_sub_f32_e32 v14, v9, v17
	v_sub_f32_e32 v20, v11, v13
	v_add_f32_e32 v19, v11, v13
	v_dual_add_f32 v11, v3, v11 :: v_dual_fmamk_f32 v6, v10, 0xbf5db3d7, v0
	s_delay_alu instid0(VALU_DEP_2) | instskip(SKIP_1) | instid1(VALU_DEP_3)
	v_dual_fmac_f32 v0, 0x3f5db3d7, v10 :: v_dual_fmac_f32 v3, -0.5, v19
	v_add_f32_e32 v10, v9, v17
	v_add_f32_e32 v9, v11, v13
	;; [unrolled: 1-line block ×4, first 2 shown]
	v_fmamk_f32 v11, v14, 0x3f5db3d7, v3
	v_fma_f32 v2, -0.5, v10, v2
	v_fmac_f32_e32 v3, 0xbf5db3d7, v14
	v_sub_f32_e32 v16, v16, v18
	v_add_f32_e32 v14, v12, v15
	v_fmac_f32_e32 v60, -0.5, v13
	v_fmamk_f32 v10, v20, 0xbf5db3d7, v2
	v_dual_fmac_f32 v2, 0x3f5db3d7, v20 :: v_dual_add_f32 v19, v12, v61
	v_sub_f32_e32 v13, v12, v15
	v_fmac_f32_e32 v61, -0.5, v14
	v_add_f32_e32 v14, v17, v18
	ds_store_2addr_b64 v105, v[4:5], v[6:7] offset1:9
	ds_store_b64 v105, v[0:1] offset:144
	ds_store_2addr_b64 v104, v[8:9], v[10:11] offset1:9
	ds_store_b64 v104, v[2:3] offset:144
	v_dual_add_f32 v15, v15, v19 :: v_dual_fmamk_f32 v12, v13, 0xbf5db3d7, v60
	v_dual_fmac_f32 v60, 0x3f5db3d7, v13 :: v_dual_fmamk_f32 v13, v16, 0x3f5db3d7, v61
	v_fmac_f32_e32 v61, 0xbf5db3d7, v16
	s_and_saveexec_b32 s0, vcc_lo
	s_cbranch_execz .LBB0_37
; %bb.36:
	v_and_b32_e32 v0, 0xffff, v103
	s_delay_alu instid0(VALU_DEP_1)
	v_lshlrev_b32_e32 v0, 3, v0
	ds_store_2addr_b64 v0, v[14:15], v[12:13] offset1:9
	ds_store_b64 v0, v[60:61] offset:144
.LBB0_37:
	s_wait_alu 0xfffe
	s_or_b32 exec_lo, exec_lo, s0
	v_add_nc_u32_e32 v4, 0x1400, v95
	v_add_nc_u32_e32 v5, 0x2880, v95
	global_wb scope:SCOPE_SE
	s_wait_dscnt 0x0
	s_barrier_signal -1
	s_barrier_wait -1
	global_inv scope:SCOPE_SE
	ds_load_2addr_b64 v[0:3], v95 offset1:243
	ds_load_2addr_b64 v[8:11], v4 offset0:8 offset1:251
	ds_load_2addr_b64 v[4:7], v5 offset1:243
	s_and_saveexec_b32 s0, vcc_lo
	s_cbranch_execz .LBB0_39
; %bb.38:
	ds_load_b64 v[14:15], v95 offset:3888
	ds_load_b64 v[12:13], v95 offset:9072
	;; [unrolled: 1-line block ×3, first 2 shown]
.LBB0_39:
	s_wait_alu 0xfffe
	s_or_b32 exec_lo, exec_lo, s0
	s_wait_dscnt 0x0
	v_dual_mul_f32 v17, v33, v9 :: v_dual_mul_f32 v18, v35, v4
	v_dual_mul_f32 v16, v33, v8 :: v_dual_mul_f32 v19, v35, v5
	v_mul_f32_e32 v21, v29, v11
	s_delay_alu instid0(VALU_DEP_3)
	v_fmac_f32_e32 v17, v32, v8
	global_wb scope:SCOPE_SE
	v_fma_f32 v8, v32, v9, -v16
	v_fmac_f32_e32 v19, v34, v4
	v_fma_f32 v9, v34, v5, -v18
	v_dual_fmac_f32 v21, v28, v10 :: v_dual_mul_f32 v4, v25, v13
	v_mul_f32_e32 v5, v29, v10
	v_mul_f32_e32 v10, v31, v6
	;; [unrolled: 1-line block ×3, first 2 shown]
	s_barrier_signal -1
	v_fmac_f32_e32 v4, v24, v12
	v_fma_f32 v28, v28, v11, -v5
	v_mul_f32_e32 v5, v25, v12
	v_fma_f32 v25, v30, v7, -v10
	v_dual_mul_f32 v11, v27, v60 :: v_dual_add_f32 v12, v0, v17
	v_add_f32_e32 v7, v17, v19
	s_barrier_wait -1
	global_inv scope:SCOPE_SE
	v_add_f32_e32 v16, v12, v19
	v_fma_f32 v10, -0.5, v7, v0
	v_sub_f32_e32 v7, v8, v9
	v_fma_f32 v0, v26, v61, -v11
	v_dual_add_f32 v11, v8, v9 :: v_dual_add_f32 v8, v1, v8
	v_fmac_f32_e32 v23, v30, v6
	v_fma_f32 v6, v24, v13, -v5
	v_fmamk_f32 v18, v7, 0xbf5db3d7, v10
	v_fmac_f32_e32 v10, 0x3f5db3d7, v7
	v_fma_f32 v11, -0.5, v11, v1
	v_dual_sub_f32 v1, v17, v19 :: v_dual_add_f32 v12, v2, v21
	v_mul_f32_e32 v5, v27, v61
	v_dual_add_f32 v17, v8, v9 :: v_dual_sub_f32 v8, v6, v0
	v_add_f32_e32 v7, v21, v23
	s_delay_alu instid0(VALU_DEP_4) | instskip(SKIP_2) | instid1(VALU_DEP_4)
	v_dual_add_f32 v20, v12, v23 :: v_dual_fmamk_f32 v19, v1, 0x3f5db3d7, v11
	v_fmac_f32_e32 v11, 0xbf5db3d7, v1
	v_add_f32_e32 v1, v28, v25
	v_fma_f32 v2, -0.5, v7, v2
	v_sub_f32_e32 v7, v28, v25
	v_fmac_f32_e32 v5, v26, v60
	v_add_f32_e32 v9, v6, v0
	v_dual_add_f32 v12, v3, v28 :: v_dual_fmac_f32 v3, -0.5, v1
	s_delay_alu instid0(VALU_DEP_4) | instskip(NEXT) | instid1(VALU_DEP_4)
	v_fmamk_f32 v22, v7, 0xbf5db3d7, v2
	v_dual_fmac_f32 v2, 0x3f5db3d7, v7 :: v_dual_add_f32 v7, v4, v5
	v_sub_f32_e32 v13, v21, v23
	s_delay_alu instid0(VALU_DEP_4) | instskip(NEXT) | instid1(VALU_DEP_3)
	v_add_f32_e32 v21, v12, v25
	v_fma_f32 v1, -0.5, v7, v14
	v_fma_f32 v7, -0.5, v9, v15
	v_sub_f32_e32 v9, v4, v5
	v_fmamk_f32 v23, v13, 0x3f5db3d7, v3
	v_fmac_f32_e32 v3, 0xbf5db3d7, v13
	v_fmamk_f32 v12, v8, 0x3f5db3d7, v1
	ds_store_2addr_b64 v107, v[16:17], v[18:19] offset1:27
	ds_store_b64 v107, v[10:11] offset:432
	ds_store_2addr_b64 v108, v[20:21], v[22:23] offset1:27
	ds_store_b64 v108, v[2:3] offset:432
	v_fmamk_f32 v13, v9, 0xbf5db3d7, v7
	s_and_saveexec_b32 s0, vcc_lo
	s_cbranch_execz .LBB0_41
; %bb.40:
	v_add_f32_e32 v2, v6, v15
	v_mul_f32_e32 v6, 0x3f5db3d7, v9
	v_mul_f32_e32 v8, 0x3f5db3d7, v8
	v_and_b32_e32 v9, 0xffff, v106
	s_delay_alu instid0(VALU_DEP_4) | instskip(SKIP_1) | instid1(VALU_DEP_3)
	v_add_f32_e32 v3, v0, v2
	v_add_f32_e32 v4, v4, v14
	v_lshlrev_b32_e32 v0, 3, v9
	s_delay_alu instid0(VALU_DEP_2)
	v_dual_add_f32 v2, v4, v5 :: v_dual_add_f32 v5, v6, v7
	v_sub_f32_e32 v4, v1, v8
	ds_store_2addr_b64 v0, v[2:3], v[4:5] offset1:27
	ds_store_b64 v0, v[12:13] offset:432
.LBB0_41:
	s_wait_alu 0xfffe
	s_or_b32 exec_lo, exec_lo, s0
	global_wb scope:SCOPE_SE
	s_wait_dscnt 0x0
	s_barrier_signal -1
	s_barrier_wait -1
	global_inv scope:SCOPE_SE
	ds_load_2addr_b64 v[0:3], v95 offset1:243
	s_wait_dscnt 0x0
	v_dual_mul_f32 v19, v45, v2 :: v_dual_add_nc_u32 v4, 0xf00, v95
	ds_load_2addr_b64 v[4:7], v4 offset0:6 offset1:249
	v_add_nc_u32_e32 v8, 0x1e00, v95
	v_mul_f32_e32 v18, v45, v3
	v_add_nc_u32_e32 v14, 0x2d80, v95
	s_delay_alu instid0(VALU_DEP_2)
	v_fmac_f32_e32 v18, v44, v2
	v_fma_f32 v2, v44, v3, -v19
	s_wait_dscnt 0x0
	v_mul_f32_e32 v3, v47, v5
	v_mul_f32_e32 v19, v47, v4
	ds_load_2addr_b64 v[8:11], v8 offset0:12 offset1:255
	ds_load_2addr_b64 v[14:17], v14 offset0:2 offset1:245
	v_mul_f32_e32 v20, v41, v7
	v_mul_f32_e32 v21, v41, v6
	v_fmac_f32_e32 v3, v46, v4
	v_fma_f32 v4, v46, v5, -v19
	global_wb scope:SCOPE_SE
	s_wait_dscnt 0x0
	v_fmac_f32_e32 v20, v40, v6
	s_barrier_signal -1
	s_barrier_wait -1
	global_inv scope:SCOPE_SE
	v_mul_f32_e32 v23, v43, v8
	v_dual_mul_f32 v22, v43, v9 :: v_dual_mul_f32 v25, v37, v10
	v_mul_f32_e32 v26, v39, v15
	v_fma_f32 v5, v40, v7, -v21
	s_delay_alu instid0(VALU_DEP_4) | instskip(SKIP_2) | instid1(VALU_DEP_2)
	v_fma_f32 v6, v42, v9, -v23
	v_mul_f32_e32 v9, v88, v17
	v_fma_f32 v7, v36, v11, -v25
	v_fmac_f32_e32 v9, v87, v16
	v_fmac_f32_e32 v22, v42, v8
	s_delay_alu instid0(VALU_DEP_3) | instskip(NEXT) | instid1(VALU_DEP_3)
	v_sub_f32_e32 v7, v2, v7
	v_dual_sub_f32 v9, v20, v9 :: v_dual_mul_f32 v24, v37, v11
	s_delay_alu instid0(VALU_DEP_3) | instskip(SKIP_1) | instid1(VALU_DEP_4)
	v_sub_f32_e32 v11, v0, v22
	v_sub_f32_e32 v6, v1, v6
	v_fma_f32 v2, v2, 2.0, -v7
	s_delay_alu instid0(VALU_DEP_4) | instskip(SKIP_1) | instid1(VALU_DEP_4)
	v_fmac_f32_e32 v24, v36, v10
	v_mul_f32_e32 v8, v39, v14
	v_fma_f32 v1, v1, 2.0, -v6
	v_fma_f32 v0, v0, 2.0, -v11
	s_delay_alu instid0(VALU_DEP_3) | instskip(SKIP_1) | instid1(VALU_DEP_2)
	v_fma_f32 v8, v38, v15, -v8
	v_sub_f32_e32 v15, v18, v24
	v_sub_f32_e32 v8, v4, v8
	s_delay_alu instid0(VALU_DEP_1) | instskip(NEXT) | instid1(VALU_DEP_1)
	v_fma_f32 v4, v4, 2.0, -v8
	v_dual_fmac_f32 v26, v38, v14 :: v_dual_sub_f32 v19, v1, v4
	s_delay_alu instid0(VALU_DEP_1) | instskip(SKIP_2) | instid1(VALU_DEP_3)
	v_sub_f32_e32 v14, v3, v26
	v_mul_f32_e32 v10, v88, v16
	v_fma_f32 v16, v18, 2.0, -v15
	v_fma_f32 v3, v3, 2.0, -v14
	s_delay_alu instid0(VALU_DEP_1) | instskip(SKIP_4) | instid1(VALU_DEP_3)
	v_sub_f32_e32 v18, v0, v3
	v_fma_f32 v3, v20, 2.0, -v9
	v_sub_f32_e32 v9, v7, v9
	v_sub_f32_e32 v21, v6, v14
	v_fma_f32 v10, v87, v17, -v10
	v_fma_f32 v7, v7, 2.0, -v9
	s_delay_alu instid0(VALU_DEP_3) | instskip(NEXT) | instid1(VALU_DEP_3)
	v_fma_f32 v23, v6, 2.0, -v21
	v_sub_f32_e32 v10, v5, v10
	v_fmamk_f32 v17, v9, 0x3f3504f3, v21
	s_delay_alu instid0(VALU_DEP_2) | instskip(SKIP_4) | instid1(VALU_DEP_4)
	v_fma_f32 v4, v5, 2.0, -v10
	v_add_f32_e32 v10, v15, v10
	v_dual_sub_f32 v22, v16, v3 :: v_dual_fmamk_f32 v3, v7, 0xbf3504f3, v23
	v_add_f32_e32 v20, v11, v8
	v_fma_f32 v8, v1, 2.0, -v19
	v_fma_f32 v6, v15, 2.0, -v10
	v_dual_fmac_f32 v17, 0xbf3504f3, v10 :: v_dual_sub_f32 v14, v2, v4
	v_sub_f32_e32 v15, v19, v22
	v_fma_f32 v11, v11, 2.0, -v20
	s_delay_alu instid0(VALU_DEP_4)
	v_fmac_f32_e32 v3, 0xbf3504f3, v6
	v_fma_f32 v5, v0, 2.0, -v18
	v_fma_f32 v0, v16, 2.0, -v22
	;; [unrolled: 1-line block ×3, first 2 shown]
	v_fmamk_f32 v2, v6, 0xbf3504f3, v11
	v_fmamk_f32 v16, v10, 0x3f3504f3, v20
	v_add_f32_e32 v14, v18, v14
	s_delay_alu instid0(VALU_DEP_4) | instskip(NEXT) | instid1(VALU_DEP_4)
	v_dual_sub_f32 v0, v5, v0 :: v_dual_sub_f32 v1, v8, v1
	v_fmac_f32_e32 v2, 0x3f3504f3, v7
	s_delay_alu instid0(VALU_DEP_4) | instskip(SKIP_1) | instid1(VALU_DEP_4)
	v_fmac_f32_e32 v16, 0x3f3504f3, v9
	v_fma_f32 v7, v23, 2.0, -v3
	v_fma_f32 v4, v5, 2.0, -v0
	;; [unrolled: 1-line block ×8, first 2 shown]
	v_add_nc_u32_e32 v18, 0x800, v109
	v_add_nc_u32_e32 v19, 0xc00, v109
	ds_store_2addr_b64 v109, v[4:5], v[6:7] offset1:81
	ds_store_2addr_b64 v109, v[8:9], v[10:11] offset0:162 offset1:243
	ds_store_2addr_b64 v18, v[0:1], v[2:3] offset0:68 offset1:149
	;; [unrolled: 1-line block ×3, first 2 shown]
	v_add_nc_u32_e32 v4, 0x1400, v95
	v_add_nc_u32_e32 v5, 0x2880, v95
	global_wb scope:SCOPE_SE
	s_wait_dscnt 0x0
	s_barrier_signal -1
	s_barrier_wait -1
	global_inv scope:SCOPE_SE
	ds_load_2addr_b64 v[0:3], v95 offset1:243
	ds_load_2addr_b64 v[8:11], v4 offset0:8 offset1:251
	ds_load_2addr_b64 v[4:7], v5 offset1:243
	s_and_saveexec_b32 s0, vcc_lo
	s_cbranch_execz .LBB0_43
; %bb.42:
	ds_load_b64 v[14:15], v95 offset:3888
	ds_load_b64 v[16:17], v95 offset:9072
	;; [unrolled: 1-line block ×3, first 2 shown]
.LBB0_43:
	s_wait_alu 0xfffe
	s_or_b32 exec_lo, exec_lo, s0
	s_wait_dscnt 0x0
	v_dual_mul_f32 v18, v57, v9 :: v_dual_mul_f32 v21, v59, v4
	v_dual_mul_f32 v19, v57, v8 :: v_dual_mul_f32 v20, v59, v5
	s_delay_alu instid0(VALU_DEP_2) | instskip(NEXT) | instid1(VALU_DEP_3)
	v_fmac_f32_e32 v18, v56, v8
	v_fma_f32 v5, v58, v5, -v21
	s_delay_alu instid0(VALU_DEP_3) | instskip(NEXT) | instid1(VALU_DEP_4)
	v_fma_f32 v8, v56, v9, -v19
	v_dual_mul_f32 v9, v53, v11 :: v_dual_fmac_f32 v20, v58, v4
	v_dual_mul_f32 v19, v55, v7 :: v_dual_mul_f32 v4, v53, v10
	s_delay_alu instid0(VALU_DEP_2) | instskip(SKIP_1) | instid1(VALU_DEP_3)
	v_fmac_f32_e32 v9, v52, v10
	v_mul_f32_e32 v10, v55, v6
	v_fmac_f32_e32 v19, v54, v6
	s_delay_alu instid0(VALU_DEP_2)
	v_fma_f32 v21, v54, v7, -v10
	v_sub_f32_e32 v10, v8, v5
	v_add_f32_e32 v7, v8, v5
	v_fma_f32 v11, v52, v11, -v4
	v_add_f32_e32 v4, v18, v20
	v_add_f32_e32 v8, v1, v8
	v_sub_f32_e32 v22, v9, v19
	v_fma_f32 v1, -0.5, v7, v1
	v_add_f32_e32 v6, v0, v18
	v_fma_f32 v0, -0.5, v4, v0
	v_sub_f32_e32 v18, v18, v20
	s_delay_alu instid0(VALU_DEP_1) | instskip(NEXT) | instid1(VALU_DEP_4)
	v_fmamk_f32 v7, v18, 0x3f5db3d7, v1
	v_add_f32_e32 v4, v6, v20
	s_delay_alu instid0(VALU_DEP_4)
	v_fmamk_f32 v6, v10, 0xbf5db3d7, v0
	v_fmac_f32_e32 v0, 0x3f5db3d7, v10
	v_add_f32_e32 v10, v11, v21
	v_sub_f32_e32 v20, v11, v21
	v_add_f32_e32 v11, v3, v11
	v_add_f32_e32 v5, v8, v5
	s_delay_alu instid0(VALU_DEP_4) | instskip(SKIP_1) | instid1(VALU_DEP_4)
	v_dual_fmac_f32 v3, -0.5, v10 :: v_dual_add_f32 v8, v9, v19
	v_dual_fmac_f32 v1, 0xbf5db3d7, v18 :: v_dual_add_f32 v18, v2, v9
	v_add_f32_e32 v9, v11, v21
	s_delay_alu instid0(VALU_DEP_3) | instskip(SKIP_3) | instid1(VALU_DEP_2)
	v_fmamk_f32 v11, v22, 0x3f5db3d7, v3
	v_fmac_f32_e32 v3, 0xbf5db3d7, v22
	v_fma_f32 v2, -0.5, v8, v2
	v_add_f32_e32 v8, v18, v19
	v_fmamk_f32 v10, v20, 0xbf5db3d7, v2
	v_fmac_f32_e32 v2, 0x3f5db3d7, v20
	ds_store_b64 v95, v[6:7] offset:5184
	ds_store_b64 v95, v[0:1] offset:10368
	ds_store_2addr_b64 v95, v[4:5], v[8:9] offset1:243
	ds_store_b64 v95, v[10:11] offset:7128
	ds_store_b64 v95, v[2:3] offset:12312
	s_and_saveexec_b32 s0, vcc_lo
	s_cbranch_execz .LBB0_45
; %bb.44:
	v_mul_f32_e32 v3, v51, v13
	s_delay_alu instid0(VALU_DEP_1) | instskip(NEXT) | instid1(VALU_DEP_1)
	v_dual_mul_f32 v2, v49, v17 :: v_dual_fmac_f32 v3, v50, v12
	v_fmac_f32_e32 v2, v48, v16
	s_delay_alu instid0(VALU_DEP_1) | instskip(NEXT) | instid1(VALU_DEP_1)
	v_dual_mul_f32 v1, v49, v16 :: v_dual_add_f32 v6, v2, v3
	v_fma_f32 v1, v48, v17, -v1
	v_dual_mul_f32 v0, v51, v12 :: v_dual_add_f32 v7, v2, v14
	s_delay_alu instid0(VALU_DEP_2) | instskip(NEXT) | instid1(VALU_DEP_2)
	v_add_f32_e32 v5, v1, v15
	v_fma_f32 v0, v50, v13, -v0
	s_delay_alu instid0(VALU_DEP_1) | instskip(NEXT) | instid1(VALU_DEP_1)
	v_add_f32_e32 v4, v1, v0
	v_dual_sub_f32 v2, v2, v3 :: v_dual_fmac_f32 v15, -0.5, v4
	s_delay_alu instid0(VALU_DEP_4) | instskip(SKIP_1) | instid1(VALU_DEP_3)
	v_dual_sub_f32 v4, v1, v0 :: v_dual_add_f32 v1, v0, v5
	v_fmac_f32_e32 v14, -0.5, v6
	v_dual_add_f32 v0, v7, v3 :: v_dual_fmamk_f32 v3, v2, 0xbf5db3d7, v15
	s_delay_alu instid0(VALU_DEP_2)
	v_dual_fmac_f32 v15, 0x3f5db3d7, v2 :: v_dual_fmamk_f32 v2, v4, 0x3f5db3d7, v14
	v_fmac_f32_e32 v14, 0xbf5db3d7, v4
	ds_store_b64 v95, v[0:1] offset:3888
	ds_store_b64 v95, v[14:15] offset:9072
	;; [unrolled: 1-line block ×3, first 2 shown]
.LBB0_45:
	s_wait_alu 0xfffe
	s_or_b32 exec_lo, exec_lo, s0
	global_wb scope:SCOPE_SE
	s_wait_dscnt 0x0
	s_barrier_signal -1
	s_barrier_wait -1
	global_inv scope:SCOPE_SE
	ds_load_2addr_b64 v[0:3], v95 offset1:243
	v_add_nc_u32_e32 v4, 0x1400, v95
	v_add_nc_u32_e32 v8, 0x2880, v95
	v_mad_co_u64_u32 v[24:25], null, s6, v72, 0
	v_mad_co_u64_u32 v[26:27], null, s4, v96, 0
	s_mov_b32 s2, 0xa88f4696
	s_mov_b32 s3, 0x3f40db20
	s_delay_alu instid0(VALU_DEP_1)
	v_mad_co_u64_u32 v[28:29], null, s7, v72, v[25:26]
	s_mul_u64 s[6:7], s[4:5], 0x288
	s_wait_alu 0xfffe
	s_lshl_b64 s[6:7], s[6:7], 3
	s_wait_dscnt 0x0
	v_mul_f32_e32 v15, v86, v2
	v_mul_f32_e32 v13, v82, v0
	ds_load_2addr_b64 v[4:7], v4 offset0:8 offset1:251
	ds_load_2addr_b64 v[8:11], v8 offset1:243
	v_mad_co_u64_u32 v[29:30], null, s5, v96, v[27:28]
	v_mul_f32_e32 v12, v82, v1
	v_mul_f32_e32 v14, v86, v3
	v_fma_f32 v13, v81, v1, -v13
	v_fma_f32 v15, v85, v3, -v15
	v_mov_b32_e32 v25, v28
	v_mov_b32_e32 v27, v29
	s_delay_alu instid0(VALU_DEP_2) | instskip(NEXT) | instid1(VALU_DEP_2)
	v_lshlrev_b64_e32 v[24:25], 3, v[24:25]
	v_lshlrev_b64_e32 v[26:27], 3, v[26:27]
	s_wait_dscnt 0x1
	v_mul_f32_e32 v16, v80, v5
	v_mul_f32_e32 v17, v80, v4
	s_wait_dscnt 0x0
	v_mul_f32_e32 v18, v76, v9
	v_mul_f32_e32 v19, v76, v8
	v_dual_fmac_f32 v12, v81, v0 :: v_dual_mul_f32 v21, v78, v6
	v_fmac_f32_e32 v14, v85, v2
	v_dual_mul_f32 v20, v78, v7 :: v_dual_mul_f32 v23, v84, v10
	v_fmac_f32_e32 v16, v79, v4
	v_fma_f32 v17, v79, v5, -v17
	v_fmac_f32_e32 v18, v75, v8
	v_mul_f32_e32 v22, v84, v11
	v_fma_f32 v19, v75, v9, -v19
	v_cvt_f64_f32_e32 v[0:1], v12
	v_cvt_f64_f32_e32 v[2:3], v13
	;; [unrolled: 1-line block ×7, first 2 shown]
	v_fmac_f32_e32 v20, v77, v6
	v_fma_f32 v18, v77, v7, -v21
	v_fmac_f32_e32 v22, v83, v10
	v_fma_f32 v23, v83, v11, -v23
	v_cvt_f64_f32_e32 v[6:7], v19
	v_cvt_f64_f32_e32 v[10:11], v20
	v_cvt_f64_f32_e32 v[18:19], v18
	v_cvt_f64_f32_e32 v[20:21], v22
	v_cvt_f64_f32_e32 v[22:23], v23
	v_mul_f64_e32 v[0:1], s[2:3], v[0:1]
	v_mul_f64_e32 v[2:3], s[2:3], v[2:3]
	v_mul_f64_e32 v[4:5], s[2:3], v[4:5]
	v_mul_f64_e32 v[8:9], s[2:3], v[8:9]
	v_mul_f64_e32 v[12:13], s[2:3], v[12:13]
	v_mul_f64_e32 v[14:15], s[2:3], v[14:15]
	v_mul_f64_e32 v[16:17], s[2:3], v[16:17]
	v_mul_f64_e32 v[6:7], s[2:3], v[6:7]
	v_mul_f64_e32 v[10:11], s[2:3], v[10:11]
	v_mul_f64_e32 v[18:19], s[2:3], v[18:19]
	v_mul_f64_e32 v[20:21], s[2:3], v[20:21]
	v_mul_f64_e32 v[22:23], s[2:3], v[22:23]
	v_cvt_f32_f64_e32 v28, v[0:1]
	v_cvt_f32_f64_e32 v29, v[2:3]
	;; [unrolled: 1-line block ×3, first 2 shown]
	v_add_co_u32 v0, s0, s8, v24
	v_cvt_f32_f64_e32 v4, v[12:13]
	v_cvt_f32_f64_e32 v5, v[14:15]
	v_cvt_f32_f64_e32 v3, v[8:9]
	v_cvt_f32_f64_e32 v8, v[16:17]
	s_wait_alu 0xf1ff
	v_add_co_ci_u32_e64 v1, s0, s9, v25, s0
	v_cvt_f32_f64_e32 v9, v[6:7]
	v_cvt_f32_f64_e32 v6, v[10:11]
	;; [unrolled: 1-line block ×5, first 2 shown]
	v_add_co_u32 v12, s0, v0, v26
	s_wait_alu 0xf1ff
	v_add_co_ci_u32_e64 v13, s0, v1, v27, s0
	s_movk_i32 s8, 0xfbe3
	s_wait_alu 0xfffe
	v_add_co_u32 v14, s0, v12, s6
	s_wait_alu 0xf1ff
	v_add_co_ci_u32_e64 v15, s0, s7, v13, s0
	s_mov_b32 s9, -1
	s_delay_alu instid0(VALU_DEP_2)
	v_add_co_u32 v16, s0, v14, s6
	s_wait_alu 0xfffe
	s_mul_u64 s[4:5], s[4:5], s[8:9]
	v_add_co_ci_u32_e64 v17, s0, s7, v15, s0
	s_wait_alu 0xfffe
	s_lshl_b64 s[4:5], s[4:5], 3
	s_wait_alu 0xfffe
	v_add_co_u32 v18, s0, v16, s4
	s_wait_alu 0xf1ff
	v_add_co_ci_u32_e64 v19, s0, s5, v17, s0
	s_delay_alu instid0(VALU_DEP_2) | instskip(SKIP_1) | instid1(VALU_DEP_2)
	v_add_co_u32 v20, s0, v18, s6
	s_wait_alu 0xf1ff
	v_add_co_ci_u32_e64 v21, s0, s7, v19, s0
	s_delay_alu instid0(VALU_DEP_2) | instskip(SKIP_1) | instid1(VALU_DEP_2)
	v_add_co_u32 v0, s0, v20, s6
	s_wait_alu 0xf1ff
	v_add_co_ci_u32_e64 v1, s0, s7, v21, s0
	s_clause 0x4
	global_store_b64 v[12:13], v[28:29], off
	global_store_b64 v[14:15], v[4:5], off
	;; [unrolled: 1-line block ×6, first 2 shown]
	s_and_b32 exec_lo, exec_lo, vcc_lo
	s_cbranch_execz .LBB0_47
; %bb.46:
	s_clause 0x2
	global_load_b64 v[2:3], v[73:74], off offset:3888
	global_load_b64 v[4:5], v[73:74], off offset:9072
	;; [unrolled: 1-line block ×3, first 2 shown]
	ds_load_b64 v[8:9], v95 offset:3888
	ds_load_b64 v[10:11], v95 offset:9072
	ds_load_b64 v[12:13], v95 offset:14256
	v_add_co_u32 v0, vcc_lo, v0, s4
	s_wait_alu 0xfffd
	v_add_co_ci_u32_e32 v1, vcc_lo, s5, v1, vcc_lo
	s_wait_loadcnt_dscnt 0x101
	v_dual_mul_f32 v14, v9, v3 :: v_dual_mul_f32 v15, v11, v5
	v_mul_f32_e32 v3, v8, v3
	s_wait_loadcnt_dscnt 0x0
	v_dual_mul_f32 v5, v10, v5 :: v_dual_mul_f32 v16, v13, v7
	v_mul_f32_e32 v7, v12, v7
	v_dual_fmac_f32 v14, v8, v2 :: v_dual_fmac_f32 v15, v10, v4
	v_fma_f32 v8, v2, v9, -v3
	s_delay_alu instid0(VALU_DEP_4)
	v_fma_f32 v9, v4, v11, -v5
	v_fmac_f32_e32 v16, v12, v6
	v_fma_f32 v12, v6, v13, -v7
	v_cvt_f64_f32_e32 v[2:3], v14
	v_cvt_f64_f32_e32 v[4:5], v8
	;; [unrolled: 1-line block ×6, first 2 shown]
	v_mul_f64_e32 v[2:3], s[2:3], v[2:3]
	v_mul_f64_e32 v[4:5], s[2:3], v[4:5]
	;; [unrolled: 1-line block ×6, first 2 shown]
	v_cvt_f32_f64_e32 v2, v[2:3]
	v_cvt_f32_f64_e32 v3, v[4:5]
	v_cvt_f32_f64_e32 v4, v[6:7]
	v_cvt_f32_f64_e32 v5, v[8:9]
	v_cvt_f32_f64_e32 v6, v[10:11]
	v_cvt_f32_f64_e32 v7, v[12:13]
	v_add_co_u32 v8, vcc_lo, v0, s6
	s_wait_alu 0xfffd
	v_add_co_ci_u32_e32 v9, vcc_lo, s7, v1, vcc_lo
	s_delay_alu instid0(VALU_DEP_2) | instskip(SKIP_1) | instid1(VALU_DEP_2)
	v_add_co_u32 v10, vcc_lo, v8, s6
	s_wait_alu 0xfffd
	v_add_co_ci_u32_e32 v11, vcc_lo, s7, v9, vcc_lo
	global_store_b64 v[0:1], v[2:3], off
	global_store_b64 v[8:9], v[4:5], off
	;; [unrolled: 1-line block ×3, first 2 shown]
.LBB0_47:
	s_nop 0
	s_sendmsg sendmsg(MSG_DEALLOC_VGPRS)
	s_endpgm
	.section	.rodata,"a",@progbits
	.p2align	6, 0x0
	.amdhsa_kernel bluestein_single_back_len1944_dim1_sp_op_CI_CI
		.amdhsa_group_segment_fixed_size 15552
		.amdhsa_private_segment_fixed_size 0
		.amdhsa_kernarg_size 104
		.amdhsa_user_sgpr_count 2
		.amdhsa_user_sgpr_dispatch_ptr 0
		.amdhsa_user_sgpr_queue_ptr 0
		.amdhsa_user_sgpr_kernarg_segment_ptr 1
		.amdhsa_user_sgpr_dispatch_id 0
		.amdhsa_user_sgpr_private_segment_size 0
		.amdhsa_wavefront_size32 1
		.amdhsa_uses_dynamic_stack 0
		.amdhsa_enable_private_segment 0
		.amdhsa_system_sgpr_workgroup_id_x 1
		.amdhsa_system_sgpr_workgroup_id_y 0
		.amdhsa_system_sgpr_workgroup_id_z 0
		.amdhsa_system_sgpr_workgroup_info 0
		.amdhsa_system_vgpr_workitem_id 0
		.amdhsa_next_free_vgpr 124
		.amdhsa_next_free_sgpr 18
		.amdhsa_reserve_vcc 1
		.amdhsa_float_round_mode_32 0
		.amdhsa_float_round_mode_16_64 0
		.amdhsa_float_denorm_mode_32 3
		.amdhsa_float_denorm_mode_16_64 3
		.amdhsa_fp16_overflow 0
		.amdhsa_workgroup_processor_mode 1
		.amdhsa_memory_ordered 1
		.amdhsa_forward_progress 0
		.amdhsa_round_robin_scheduling 0
		.amdhsa_exception_fp_ieee_invalid_op 0
		.amdhsa_exception_fp_denorm_src 0
		.amdhsa_exception_fp_ieee_div_zero 0
		.amdhsa_exception_fp_ieee_overflow 0
		.amdhsa_exception_fp_ieee_underflow 0
		.amdhsa_exception_fp_ieee_inexact 0
		.amdhsa_exception_int_div_zero 0
	.end_amdhsa_kernel
	.text
.Lfunc_end0:
	.size	bluestein_single_back_len1944_dim1_sp_op_CI_CI, .Lfunc_end0-bluestein_single_back_len1944_dim1_sp_op_CI_CI
                                        ; -- End function
	.section	.AMDGPU.csdata,"",@progbits
; Kernel info:
; codeLenInByte = 10988
; NumSgprs: 20
; NumVgprs: 124
; ScratchSize: 0
; MemoryBound: 0
; FloatMode: 240
; IeeeMode: 1
; LDSByteSize: 15552 bytes/workgroup (compile time only)
; SGPRBlocks: 2
; VGPRBlocks: 15
; NumSGPRsForWavesPerEU: 20
; NumVGPRsForWavesPerEU: 124
; Occupancy: 10
; WaveLimiterHint : 1
; COMPUTE_PGM_RSRC2:SCRATCH_EN: 0
; COMPUTE_PGM_RSRC2:USER_SGPR: 2
; COMPUTE_PGM_RSRC2:TRAP_HANDLER: 0
; COMPUTE_PGM_RSRC2:TGID_X_EN: 1
; COMPUTE_PGM_RSRC2:TGID_Y_EN: 0
; COMPUTE_PGM_RSRC2:TGID_Z_EN: 0
; COMPUTE_PGM_RSRC2:TIDIG_COMP_CNT: 0
	.text
	.p2alignl 7, 3214868480
	.fill 96, 4, 3214868480
	.type	__hip_cuid_bd87e0fa898e389,@object ; @__hip_cuid_bd87e0fa898e389
	.section	.bss,"aw",@nobits
	.globl	__hip_cuid_bd87e0fa898e389
__hip_cuid_bd87e0fa898e389:
	.byte	0                               ; 0x0
	.size	__hip_cuid_bd87e0fa898e389, 1

	.ident	"AMD clang version 19.0.0git (https://github.com/RadeonOpenCompute/llvm-project roc-6.4.0 25133 c7fe45cf4b819c5991fe208aaa96edf142730f1d)"
	.section	".note.GNU-stack","",@progbits
	.addrsig
	.addrsig_sym __hip_cuid_bd87e0fa898e389
	.amdgpu_metadata
---
amdhsa.kernels:
  - .args:
      - .actual_access:  read_only
        .address_space:  global
        .offset:         0
        .size:           8
        .value_kind:     global_buffer
      - .actual_access:  read_only
        .address_space:  global
        .offset:         8
        .size:           8
        .value_kind:     global_buffer
      - .actual_access:  read_only
        .address_space:  global
        .offset:         16
        .size:           8
        .value_kind:     global_buffer
      - .actual_access:  read_only
        .address_space:  global
        .offset:         24
        .size:           8
        .value_kind:     global_buffer
      - .actual_access:  read_only
        .address_space:  global
        .offset:         32
        .size:           8
        .value_kind:     global_buffer
      - .offset:         40
        .size:           8
        .value_kind:     by_value
      - .address_space:  global
        .offset:         48
        .size:           8
        .value_kind:     global_buffer
      - .address_space:  global
        .offset:         56
        .size:           8
        .value_kind:     global_buffer
      - .address_space:  global
        .offset:         64
        .size:           8
        .value_kind:     global_buffer
      - .address_space:  global
        .offset:         72
        .size:           8
        .value_kind:     global_buffer
      - .offset:         80
        .size:           4
        .value_kind:     by_value
      - .address_space:  global
        .offset:         88
        .size:           8
        .value_kind:     global_buffer
      - .address_space:  global
        .offset:         96
        .size:           8
        .value_kind:     global_buffer
    .group_segment_fixed_size: 15552
    .kernarg_segment_align: 8
    .kernarg_segment_size: 104
    .language:       OpenCL C
    .language_version:
      - 2
      - 0
    .max_flat_workgroup_size: 243
    .name:           bluestein_single_back_len1944_dim1_sp_op_CI_CI
    .private_segment_fixed_size: 0
    .sgpr_count:     20
    .sgpr_spill_count: 0
    .symbol:         bluestein_single_back_len1944_dim1_sp_op_CI_CI.kd
    .uniform_work_group_size: 1
    .uses_dynamic_stack: false
    .vgpr_count:     124
    .vgpr_spill_count: 0
    .wavefront_size: 32
    .workgroup_processor_mode: 1
amdhsa.target:   amdgcn-amd-amdhsa--gfx1201
amdhsa.version:
  - 1
  - 2
...

	.end_amdgpu_metadata
